;; amdgpu-corpus repo=zjin-lcf/HeCBench kind=compiled arch=gfx1250 opt=O3
	.amdgcn_target "amdgcn-amd-amdhsa--gfx1250"
	.amdhsa_code_object_version 6
	.text
	.protected	_Z11cool_kernelidPKdPdi ; -- Begin function _Z11cool_kernelidPKdPdi
	.globl	_Z11cool_kernelidPKdPdi
	.p2align	8
	.type	_Z11cool_kernelidPKdPdi,@function
_Z11cool_kernelidPKdPdi:                ; @_Z11cool_kernelidPKdPdi
; %bb.0:
	s_clause 0x1
	s_load_b32 s2, s[0:1], 0x34
	s_load_b32 s3, s[0:1], 0x0
	s_bfe_u32 s4, ttmp6, 0x4000c
	s_and_b32 s5, ttmp6, 15
	s_add_co_i32 s4, s4, 1
	s_getreg_b32 s6, hwreg(HW_REG_IB_STS2, 6, 4)
	s_mul_i32 s4, ttmp9, s4
	s_delay_alu instid0(SALU_CYCLE_1) | instskip(SKIP_4) | instid1(SALU_CYCLE_1)
	s_add_co_i32 s5, s5, s4
	s_wait_kmcnt 0x0
	s_and_b32 s2, s2, 0xffff
	s_cmp_eq_u32 s6, 0
	s_cselect_b32 s4, ttmp9, s5
	v_mad_u32 v0, s4, s2, v0
	s_mov_b32 s2, exec_lo
	s_delay_alu instid0(VALU_DEP_1)
	v_cmpx_gt_i32_e64 s3, v0
	s_cbranch_execz .LBB0_11
; %bb.1:
	s_clause 0x1
	s_load_b128 s[20:23], s[0:1], 0x8
	s_load_b32 s18, s[0:1], 0x20
	s_mov_b64 s[6:7], 0x3fe5555555555555
	s_mov_b64 s[12:13], 0x3fe62e42fefa39ef
	;; [unrolled: 1-line block ×4, first 2 shown]
	v_mov_b64_e32 v[74:75], 0x3ec71dee623fde64
	s_wait_kmcnt 0x0
	global_load_b64 v[4:5], v0, s[22:23] scale_offset
	s_wait_loadcnt 0x0
	v_cmp_gt_f64_e32 vcc_lo, 0x10000000, v[4:5]
	v_div_scale_f64 v[42:43], null, v[4:5], v[4:5], s[10:11]
	v_frexp_exp_i32_f64_e32 v68, v[4:5]
	v_cndmask_b32_e64 v1, 0, 0x100, vcc_lo
	s_delay_alu instid0(VALU_DEP_1) | instskip(SKIP_1) | instid1(VALU_DEP_2)
	v_ldexp_f64 v[2:3], v[4:5], v1
	v_cndmask_b32_e64 v1, 0, 0xffffff80, vcc_lo
	v_rsq_f64_e32 v[6:7], v[2:3]
	v_cmp_class_f64_e64 vcc_lo, v[2:3], 0x260
	s_delay_alu instid0(TRANS32_DEP_1) | instskip(SKIP_1) | instid1(VALU_DEP_1)
	v_mul_f64_e32 v[8:9], v[2:3], v[6:7]
	v_mul_f64_e32 v[6:7], 0.5, v[6:7]
	v_fma_f64 v[10:11], -v[6:7], v[8:9], 0.5
	s_delay_alu instid0(VALU_DEP_1) | instskip(SKIP_1) | instid1(VALU_DEP_2)
	v_fmac_f64_e32 v[8:9], v[8:9], v[10:11]
	v_fmac_f64_e32 v[6:7], v[6:7], v[10:11]
	v_fma_f64 v[10:11], -v[8:9], v[8:9], v[2:3]
	s_delay_alu instid0(VALU_DEP_1) | instskip(NEXT) | instid1(VALU_DEP_1)
	v_fmac_f64_e32 v[8:9], v[10:11], v[6:7]
	v_fma_f64 v[10:11], -v[8:9], v[8:9], v[2:3]
	s_delay_alu instid0(VALU_DEP_1) | instskip(SKIP_1) | instid1(VALU_DEP_2)
	v_fmac_f64_e32 v[8:9], v[10:11], v[6:7]
	v_div_scale_f64 v[10:11], null, 0x412e8480, 0x412e8480, v[4:5]
	v_ldexp_f64 v[6:7], v[8:9], v1
	v_div_scale_f64 v[8:9], null, 0x408f4000, 0x408f4000, v[4:5]
	s_delay_alu instid0(VALU_DEP_3) | instskip(NEXT) | instid1(VALU_DEP_2)
	v_rcp_f64_e32 v[16:17], v[10:11]
	v_dual_cndmask_b32 v3, v7, v3 :: v_dual_cndmask_b32 v2, v6, v2
	s_delay_alu instid0(VALU_DEP_2) | instskip(NEXT) | instid1(VALU_DEP_1)
	v_rcp_f64_e32 v[14:15], v[8:9]
	v_div_scale_f64 v[6:7], null, v[2:3], v[2:3], 1.0
	v_div_scale_f64 v[24:25], vcc_lo, 1.0, v[2:3], 1.0
	s_delay_alu instid0(TRANS32_DEP_2) | instskip(NEXT) | instid1(VALU_DEP_3)
	v_fma_f64 v[22:23], -v[10:11], v[16:17], 1.0
	v_rcp_f64_e32 v[12:13], v[6:7]
	s_delay_alu instid0(TRANS32_DEP_2) | instskip(NEXT) | instid1(VALU_DEP_2)
	v_fma_f64 v[20:21], -v[8:9], v[14:15], 1.0
	v_fmac_f64_e32 v[16:17], v[16:17], v[22:23]
	s_delay_alu instid0(VALU_DEP_2) | instskip(NEXT) | instid1(VALU_DEP_2)
	v_fmac_f64_e32 v[14:15], v[14:15], v[20:21]
	v_fma_f64 v[22:23], -v[10:11], v[16:17], 1.0
	s_delay_alu instid0(TRANS32_DEP_1) | instskip(NEXT) | instid1(VALU_DEP_3)
	v_fma_f64 v[18:19], -v[6:7], v[12:13], 1.0
	v_fma_f64 v[20:21], -v[8:9], v[14:15], 1.0
	s_delay_alu instid0(VALU_DEP_3) | instskip(NEXT) | instid1(VALU_DEP_3)
	v_fmac_f64_e32 v[16:17], v[16:17], v[22:23]
	v_fmac_f64_e32 v[12:13], v[12:13], v[18:19]
	s_delay_alu instid0(VALU_DEP_3) | instskip(SKIP_1) | instid1(VALU_DEP_3)
	v_fmac_f64_e32 v[14:15], v[14:15], v[20:21]
	v_div_scale_f64 v[20:21], s3, v[4:5], 0x412e8480, v[4:5]
	v_fma_f64 v[18:19], -v[6:7], v[12:13], 1.0
	s_delay_alu instid0(VALU_DEP_2) | instskip(NEXT) | instid1(VALU_DEP_2)
	v_mul_f64_e32 v[28:29], v[20:21], v[16:17]
	v_fmac_f64_e32 v[12:13], v[12:13], v[18:19]
	v_div_scale_f64 v[18:19], s2, v[4:5], 0x408f4000, v[4:5]
	s_delay_alu instid0(VALU_DEP_3) | instskip(NEXT) | instid1(VALU_DEP_3)
	v_fma_f64 v[20:21], -v[10:11], v[28:29], v[20:21]
	v_mul_f64_e32 v[22:23], v[24:25], v[12:13]
	s_delay_alu instid0(VALU_DEP_3) | instskip(NEXT) | instid1(VALU_DEP_2)
	v_mul_f64_e32 v[26:27], v[18:19], v[14:15]
	v_fma_f64 v[6:7], -v[6:7], v[22:23], v[24:25]
	s_delay_alu instid0(VALU_DEP_2) | instskip(NEXT) | instid1(VALU_DEP_2)
	v_fma_f64 v[18:19], -v[8:9], v[26:27], v[18:19]
	v_div_fmas_f64 v[8:9], v[6:7], v[12:13], v[22:23]
	s_mov_b32 vcc_lo, s2
	v_cmp_eq_f64_e64 s2, 1.0, v[4:5]
	s_delay_alu instid0(VALU_DEP_3) | instskip(SKIP_3) | instid1(VALU_DEP_3)
	v_div_fmas_f64 v[10:11], v[18:19], v[14:15], v[26:27]
	s_mov_b32 vcc_lo, s3
	v_div_fmas_f64 v[6:7], v[20:21], v[16:17], v[28:29]
	v_div_fixup_f64 v[8:9], v[8:9], v[2:3], 1.0
	v_div_fixup_f64 v[10:11], v[10:11], 0x408f4000, v[4:5]
	s_delay_alu instid0(VALU_DEP_3) | instskip(NEXT) | instid1(VALU_DEP_2)
	v_div_fixup_f64 v[6:7], v[6:7], 0x412e8480, v[4:5]
	v_frexp_mant_f64_e64 v[40:41], |v[10:11]|
	s_delay_alu instid0(VALU_DEP_2) | instskip(NEXT) | instid1(VALU_DEP_1)
	v_frexp_mant_f64_e64 v[12:13], |v[6:7]|
	v_cmp_gt_f64_e32 vcc_lo, s[6:7], v[12:13]
	v_cndmask_b32_e64 v1, 0, 1, vcc_lo
	s_delay_alu instid0(VALU_DEP_1) | instskip(SKIP_1) | instid1(VALU_DEP_2)
	v_ldexp_f64 v[12:13], v[12:13], v1
	v_frexp_exp_i32_f64_e32 v1, v[6:7]
	v_add_f64_e32 v[14:15], 1.0, v[12:13]
	v_add_f64_e32 v[20:21], -1.0, v[12:13]
	s_delay_alu instid0(VALU_DEP_3) | instskip(SKIP_1) | instid1(VALU_DEP_4)
	v_subrev_co_ci_u32_e64 v1, null, 0, v1, vcc_lo
	v_cmp_eq_f64_e32 vcc_lo, 1.0, v[6:7]
	v_rcp_f64_e32 v[16:17], v[14:15]
	v_add_f64_e32 v[22:23], -1.0, v[14:15]
	v_cndmask_b32_e64 v44, 0x66666666, 0, vcc_lo
	s_delay_alu instid0(VALU_DEP_2) | instskip(NEXT) | instid1(TRANS32_DEP_1)
	v_add_f64_e64 v[12:13], v[12:13], -v[22:23]
	v_fma_f64 v[18:19], -v[14:15], v[16:17], 1.0
	s_delay_alu instid0(VALU_DEP_1) | instskip(NEXT) | instid1(VALU_DEP_1)
	v_fmac_f64_e32 v[16:17], v[18:19], v[16:17]
	v_fma_f64 v[18:19], -v[14:15], v[16:17], 1.0
	s_delay_alu instid0(VALU_DEP_1) | instskip(NEXT) | instid1(VALU_DEP_1)
	v_fmac_f64_e32 v[16:17], v[18:19], v[16:17]
	v_mul_f64_e32 v[18:19], v[20:21], v[16:17]
	s_delay_alu instid0(VALU_DEP_1) | instskip(NEXT) | instid1(VALU_DEP_1)
	v_mul_f64_e32 v[24:25], v[14:15], v[18:19]
	v_fma_f64 v[14:15], v[18:19], v[14:15], -v[24:25]
	s_delay_alu instid0(VALU_DEP_1) | instskip(NEXT) | instid1(VALU_DEP_1)
	v_fmac_f64_e32 v[14:15], v[18:19], v[12:13]
	v_add_f64_e32 v[12:13], v[24:25], v[14:15]
	s_delay_alu instid0(VALU_DEP_1) | instskip(SKIP_1) | instid1(VALU_DEP_2)
	v_add_f64_e64 v[22:23], v[20:21], -v[12:13]
	v_add_f64_e64 v[24:25], v[12:13], -v[24:25]
	;; [unrolled: 1-line block ×3, first 2 shown]
	s_delay_alu instid0(VALU_DEP_2) | instskip(NEXT) | instid1(VALU_DEP_2)
	v_add_f64_e64 v[14:15], v[24:25], -v[14:15]
	v_add_f64_e64 v[12:13], v[20:21], -v[12:13]
	s_delay_alu instid0(VALU_DEP_1) | instskip(NEXT) | instid1(VALU_DEP_1)
	v_add_f64_e32 v[12:13], v[14:15], v[12:13]
	v_add_f64_e32 v[12:13], v[22:23], v[12:13]
	s_delay_alu instid0(VALU_DEP_1) | instskip(NEXT) | instid1(VALU_DEP_1)
	v_mul_f64_e32 v[12:13], v[16:17], v[12:13]
	v_add_f64_e32 v[14:15], v[18:19], v[12:13]
	s_delay_alu instid0(VALU_DEP_1) | instskip(SKIP_1) | instid1(VALU_DEP_2)
	v_add_f64_e64 v[16:17], v[14:15], -v[18:19]
	v_mul_f64_e32 v[18:19], v[14:15], v[14:15]
	v_add_f64_e64 v[12:13], v[12:13], -v[16:17]
	s_delay_alu instid0(VALU_DEP_2) | instskip(NEXT) | instid1(VALU_DEP_2)
	v_fma_f64 v[20:21], v[14:15], v[14:15], -v[18:19]
	v_add_f64_e32 v[16:17], v[12:13], v[12:13]
	s_delay_alu instid0(VALU_DEP_1) | instskip(SKIP_1) | instid1(VALU_DEP_2)
	v_fmac_f64_e32 v[20:21], v[14:15], v[16:17]
	v_mov_b64_e32 v[16:17], 0x3fba6564968915a9
	v_add_f64_e32 v[22:23], v[18:19], v[20:21]
	s_delay_alu instid0(VALU_DEP_1) | instskip(SKIP_2) | instid1(VALU_DEP_3)
	v_fmamk_f64 v[24:25], v[22:23], 0x3fbdee674222de17, v[16:17]
	v_add_f64_e64 v[18:19], v[22:23], -v[18:19]
	v_mul_f64_e32 v[30:31], v[14:15], v[22:23]
	v_fmaak_f64 v[24:25], v[22:23], v[24:25], 0x3fbe25e43abe935a
	s_delay_alu instid0(VALU_DEP_1) | instskip(NEXT) | instid1(VALU_DEP_1)
	v_fmaak_f64 v[24:25], v[22:23], v[24:25], 0x3fc110ef47e6c9c2
	v_fmaak_f64 v[24:25], v[22:23], v[24:25], 0x3fc3b13bcfa74449
	s_delay_alu instid0(VALU_DEP_1) | instskip(SKIP_1) | instid1(VALU_DEP_2)
	v_fmaak_f64 v[24:25], v[22:23], v[24:25], 0x3fc745d171bf3c30
	v_add_f64_e64 v[18:19], v[20:21], -v[18:19]
	v_fmaak_f64 v[24:25], v[22:23], v[24:25], 0x3fcc71c71c7792ce
	s_delay_alu instid0(VALU_DEP_1) | instskip(NEXT) | instid1(VALU_DEP_1)
	v_fmaak_f64 v[24:25], v[22:23], v[24:25], 0x3fd24924924920da
	v_fmaak_f64 v[24:25], v[22:23], v[24:25], 0x3fd999999999999c
	s_delay_alu instid0(VALU_DEP_1) | instskip(NEXT) | instid1(VALU_DEP_1)
	v_mul_f64_e32 v[26:27], v[22:23], v[24:25]
	v_fma_f64 v[20:21], v[22:23], v[24:25], -v[26:27]
	s_delay_alu instid0(VALU_DEP_1) | instskip(NEXT) | instid1(VALU_DEP_1)
	v_fmac_f64_e32 v[20:21], v[18:19], v[24:25]
	v_add_f64_e32 v[24:25], v[26:27], v[20:21]
	s_delay_alu instid0(VALU_DEP_1) | instskip(SKIP_1) | instid1(VALU_DEP_2)
	v_add_f64_e32 v[28:29], 0x3fe5555555555555, v[24:25]
	v_add_f64_e64 v[26:27], v[24:25], -v[26:27]
	v_add_f64_e32 v[32:33], 0xbfe5555555555555, v[28:29]
	s_delay_alu instid0(VALU_DEP_2) | instskip(SKIP_1) | instid1(VALU_DEP_3)
	v_add_f64_e64 v[20:21], v[20:21], -v[26:27]
	v_fma_f64 v[26:27], v[22:23], v[14:15], -v[30:31]
	v_add_f64_e64 v[24:25], v[24:25], -v[32:33]
	s_delay_alu instid0(VALU_DEP_3) | instskip(NEXT) | instid1(VALU_DEP_3)
	v_add_f64_e32 v[20:21], 0x3c8543b0d5df274d, v[20:21]
	v_fmac_f64_e32 v[26:27], v[22:23], v[12:13]
	v_ldexp_f64 v[12:13], v[12:13], 1
	s_delay_alu instid0(VALU_DEP_3) | instskip(NEXT) | instid1(VALU_DEP_3)
	v_add_f64_e32 v[20:21], v[20:21], v[24:25]
	v_fmac_f64_e32 v[26:27], v[18:19], v[14:15]
	v_ldexp_f64 v[14:15], v[14:15], 1
	s_delay_alu instid0(VALU_DEP_3) | instskip(NEXT) | instid1(VALU_DEP_3)
	v_add_f64_e32 v[18:19], v[28:29], v[20:21]
	v_add_f64_e32 v[22:23], v[30:31], v[26:27]
	s_delay_alu instid0(VALU_DEP_2) | instskip(NEXT) | instid1(VALU_DEP_2)
	v_add_f64_e64 v[24:25], v[28:29], -v[18:19]
	v_mul_f64_e32 v[28:29], v[22:23], v[18:19]
	v_add_f64_e64 v[30:31], v[22:23], -v[30:31]
	s_delay_alu instid0(VALU_DEP_3) | instskip(NEXT) | instid1(VALU_DEP_3)
	v_add_f64_e32 v[20:21], v[20:21], v[24:25]
	v_fma_f64 v[24:25], v[22:23], v[18:19], -v[28:29]
	s_delay_alu instid0(VALU_DEP_3) | instskip(NEXT) | instid1(VALU_DEP_2)
	v_add_f64_e64 v[26:27], v[26:27], -v[30:31]
	v_fmac_f64_e32 v[24:25], v[22:23], v[20:21]
	v_cvt_f64_i32_e32 v[20:21], v1
	s_delay_alu instid0(VALU_DEP_2) | instskip(NEXT) | instid1(VALU_DEP_1)
	v_fmac_f64_e32 v[24:25], v[26:27], v[18:19]
	v_add_f64_e32 v[18:19], v[28:29], v[24:25]
	s_delay_alu instid0(VALU_DEP_1) | instskip(SKIP_2) | instid1(VALU_DEP_3)
	v_add_f64_e32 v[22:23], v[14:15], v[18:19]
	v_add_f64_e64 v[26:27], v[18:19], -v[28:29]
	v_mul_f64_e32 v[28:29], 0x3fe62e42fefa39ef, v[20:21]
	v_add_f64_e64 v[14:15], v[22:23], -v[14:15]
	s_delay_alu instid0(VALU_DEP_3) | instskip(NEXT) | instid1(VALU_DEP_3)
	v_add_f64_e64 v[24:25], v[24:25], -v[26:27]
	v_fma_f64 v[26:27], v[20:21], s[12:13], -v[28:29]
	s_delay_alu instid0(VALU_DEP_3) | instskip(NEXT) | instid1(VALU_DEP_3)
	v_add_f64_e64 v[14:15], v[18:19], -v[14:15]
	v_add_f64_e32 v[12:13], v[12:13], v[24:25]
	s_delay_alu instid0(VALU_DEP_3) | instskip(NEXT) | instid1(VALU_DEP_2)
	v_fmac_f64_e32 v[26:27], 0x3c7abc9e3b39803f, v[20:21]
	v_add_f64_e32 v[12:13], v[12:13], v[14:15]
	s_delay_alu instid0(VALU_DEP_2) | instskip(NEXT) | instid1(VALU_DEP_2)
	v_add_f64_e32 v[14:15], v[28:29], v[26:27]
	v_add_f64_e32 v[18:19], v[22:23], v[12:13]
	s_delay_alu instid0(VALU_DEP_2) | instskip(NEXT) | instid1(VALU_DEP_2)
	v_add_f64_e64 v[24:25], v[14:15], -v[28:29]
	v_add_f64_e32 v[30:31], v[14:15], v[18:19]
	v_add_f64_e64 v[22:23], v[18:19], -v[22:23]
	s_delay_alu instid0(VALU_DEP_3) | instskip(NEXT) | instid1(VALU_DEP_3)
	v_add_f64_e64 v[26:27], v[26:27], -v[24:25]
	v_add_f64_e64 v[20:21], v[30:31], -v[14:15]
	s_delay_alu instid0(VALU_DEP_3) | instskip(NEXT) | instid1(VALU_DEP_2)
	v_add_f64_e64 v[12:13], v[12:13], -v[22:23]
	v_add_f64_e64 v[28:29], v[30:31], -v[20:21]
	;; [unrolled: 1-line block ×3, first 2 shown]
	v_frexp_mant_f64_e64 v[20:21], |v[4:5]|
	s_delay_alu instid0(VALU_DEP_4) | instskip(NEXT) | instid1(VALU_DEP_4)
	v_add_f64_e32 v[22:23], v[26:27], v[12:13]
	v_add_f64_e64 v[14:15], v[14:15], -v[28:29]
	s_delay_alu instid0(VALU_DEP_3) | instskip(NEXT) | instid1(VALU_DEP_3)
	v_cmp_gt_f64_e64 s5, s[6:7], v[20:21]
	v_add_f64_e64 v[32:33], v[22:23], -v[26:27]
	v_cmp_gt_f64_e64 s6, s[6:7], v[40:41]
	s_delay_alu instid0(VALU_DEP_4) | instskip(NEXT) | instid1(VALU_DEP_4)
	v_add_f64_e32 v[14:15], v[18:19], v[14:15]
	v_cndmask_b32_e64 v1, 0, 1, s5
	s_delay_alu instid0(VALU_DEP_4) | instskip(NEXT) | instid1(VALU_DEP_4)
	v_add_f64_e64 v[12:13], v[12:13], -v[32:33]
	v_cndmask_b32_e64 v62, 0, 1, s6
	s_delay_alu instid0(VALU_DEP_3) | instskip(SKIP_1) | instid1(VALU_DEP_1)
	v_ldexp_f64 v[20:21], v[20:21], v1
	v_mov_b32_e32 v1, 0x3ff00000
	v_cndmask_b32_e32 v45, 0x3fe66666, v1, vcc_lo
	s_delay_alu instid0(VALU_DEP_1) | instskip(SKIP_4) | instid1(VALU_DEP_4)
	v_mul_f64_e32 v[54:55], 0.5, v[44:45]
	v_add_f64_e32 v[34:35], v[22:23], v[14:15]
	v_add_f64_e64 v[14:15], v[22:23], -v[32:33]
	v_add_f64_e32 v[24:25], 1.0, v[20:21]
	v_add_f64_e32 v[46:47], -1.0, v[20:21]
	v_add_f64_e32 v[28:29], v[30:31], v[34:35]
	s_delay_alu instid0(VALU_DEP_4) | instskip(NEXT) | instid1(VALU_DEP_4)
	v_add_f64_e64 v[14:15], v[26:27], -v[14:15]
	v_rcp_f64_e32 v[18:19], v[24:25]
	s_delay_alu instid0(VALU_DEP_2) | instskip(NEXT) | instid1(VALU_DEP_2)
	v_add_f64_e64 v[22:23], v[28:29], -v[30:31]
	v_add_f64_e32 v[14:15], v[12:13], v[14:15]
	v_cndmask_b32_e64 v13, 0xbfe45460, v1, s2
	v_cndmask_b32_e64 v12, 0xaa64c2f8, 0, s2
	s_delay_alu instid0(TRANS32_DEP_1) | instskip(SKIP_1) | instid1(VALU_DEP_3)
	v_fma_f64 v[26:27], -v[24:25], v[18:19], 1.0
	v_add_f64_e64 v[22:23], v[34:35], -v[22:23]
	v_mul_f64_e32 v[34:35], 0.5, v[12:13]
	s_delay_alu instid0(VALU_DEP_3) | instskip(SKIP_1) | instid1(VALU_DEP_4)
	v_fmac_f64_e32 v[18:19], v[26:27], v[18:19]
	v_div_scale_f64 v[26:27], null, v[4:5], v[4:5], 0xc11cafc0
	v_dual_add_f64 v[32:33], v[14:15], v[22:23] :: v_dual_mov_b32 v14, 0
	v_cndmask_b32_e64 v15, 0xbff80000, v1, s2
	v_div_scale_f64 v[22:23], null, v[4:5], v[4:5], 0xc0f6f300
	v_trunc_f64_e32 v[52:53], v[34:35]
	s_delay_alu instid0(VALU_DEP_3) | instskip(SKIP_4) | instid1(VALU_DEP_4)
	v_mul_f64_e32 v[36:37], 0.5, v[14:15]
	v_fma_f64 v[48:49], -v[24:25], v[18:19], 1.0
	v_rcp_f64_e32 v[38:39], v[26:27]
	v_add_f64_e32 v[50:51], v[28:29], v[32:33]
	v_rcp_f64_e32 v[30:31], v[22:23]
	v_cmp_neq_f64_e64 s4, v[52:53], v[34:35]
	v_trunc_f64_e32 v[34:35], v[54:55]
	v_trunc_f64_e32 v[56:57], v[36:37]
	v_fmac_f64_e32 v[18:19], v[48:49], v[18:19]
	v_ldexp_f64 v[48:49], v[40:41], v62
	v_rcp_f64_e32 v[40:41], v[42:43]
	v_add_f64_e64 v[58:59], v[50:51], -v[28:29]
	v_mul_f64_e32 v[60:61], v[44:45], v[50:51]
	v_cmp_neq_f64_e32 vcc_lo, v[34:35], v[54:55]
	v_cmp_neq_f64_e64 s3, v[56:57], v[36:37]
	s_delay_alu instid0(TRANS32_DEP_3) | instskip(NEXT) | instid1(TRANS32_DEP_2)
	v_fma_f64 v[36:37], -v[26:27], v[38:39], 1.0
	v_fma_f64 v[54:55], -v[22:23], v[30:31], 1.0
	v_add_f64_e32 v[56:57], -1.0, v[24:25]
	v_mul_f64_e32 v[28:29], v[46:47], v[18:19]
	v_add_f64_e64 v[52:53], v[32:33], -v[58:59]
	v_add_f64_e32 v[32:33], 1.0, v[48:49]
	v_fma_f64 v[50:51], v[44:45], v[50:51], -v[60:61]
	v_cmp_class_f64_e64 s7, v[60:61], 0x204
	v_fmac_f64_e32 v[38:39], v[38:39], v[36:37]
	v_fmac_f64_e32 v[30:31], v[30:31], v[54:55]
	v_add_f64_e64 v[20:21], v[20:21], -v[56:57]
	v_mul_f64_e32 v[36:37], v[24:25], v[28:29]
	v_rcp_f64_e32 v[34:35], v[32:33]
	v_fmac_f64_e32 v[50:51], v[44:45], v[52:53]
	s_delay_alu instid0(TRANS32_DEP_2) | instskip(NEXT) | instid1(VALU_DEP_3)
	v_fma_f64 v[52:53], -v[42:43], v[40:41], 1.0
	v_fma_f64 v[54:55], v[28:29], v[24:25], -v[36:37]
	s_delay_alu instid0(VALU_DEP_3) | instskip(NEXT) | instid1(VALU_DEP_3)
	v_add_f64_e32 v[24:25], v[60:61], v[50:51]
	v_fmac_f64_e32 v[40:41], v[40:41], v[52:53]
	s_delay_alu instid0(TRANS32_DEP_1) | instskip(NEXT) | instid1(VALU_DEP_4)
	v_fma_f64 v[52:53], -v[32:33], v[34:35], 1.0
	v_fmac_f64_e32 v[54:55], v[28:29], v[20:21]
	s_delay_alu instid0(VALU_DEP_4) | instskip(SKIP_3) | instid1(VALU_DEP_4)
	v_dual_cndmask_b32 v21, v25, v61, s7 :: v_dual_cndmask_b32 v20, v24, v60, s7
	v_add_f64_e64 v[56:57], v[24:25], -v[60:61]
	v_mov_b64_e32 v[24:25], 0x3e928af3fca7ab0c
	v_fmac_f64_e32 v[34:35], v[52:53], v[34:35]
	v_mul_f64_e32 v[52:53], 0x3ff71547652b82fe, v[20:21]
	v_cmp_neq_f64_e64 s7, 0x7ff00000, |v[20:21]|
	v_cmp_nlt_f64_e64 s8, 0x40900000, v[20:21]
	v_cmp_ngt_f64_e64 s9, 0xc090cc00, v[20:21]
	v_add_f64_e64 v[50:51], v[50:51], -v[56:57]
	v_fma_f64 v[56:57], -v[26:27], v[38:39], 1.0
	v_rndne_f64_e32 v[52:53], v[52:53]
	s_delay_alu instid0(VALU_DEP_3) | instskip(NEXT) | instid1(VALU_DEP_3)
	v_cndmask_b32_e64 v51, 0, v51, s7
	v_fmac_f64_e32 v[38:39], v[38:39], v[56:57]
	v_fma_f64 v[56:57], -v[32:33], v[34:35], 1.0
	v_cndmask_b32_e64 v50, 0, v50, s7
	v_fmamk_f64 v[58:59], v[52:53], 0xbfe62e42fefa39ef, v[20:21]
	v_add_f64_e32 v[20:21], v[36:37], v[54:55]
	s_and_b32 s7, s9, s8
	s_delay_alu instid0(VALU_DEP_2)
	v_fmac_f64_e32 v[58:59], 0xbc7abc9e3b39803f, v[52:53]
	v_cvt_i32_f64_e32 v52, v[52:53]
	v_fmac_f64_e32 v[34:35], v[56:57], v[34:35]
	v_add_f64_e32 v[56:57], -1.0, v[48:49]
	v_add_f64_e64 v[36:37], v[20:21], -v[36:37]
	v_fmamk_f64 v[60:61], v[58:59], 0x3e5ade156a5dcb37, v[24:25]
	s_delay_alu instid0(VALU_DEP_1) | instskip(NEXT) | instid1(VALU_DEP_1)
	v_fmaak_f64 v[60:61], v[58:59], v[60:61], 0x3ec71dee623fde64
	v_fmaak_f64 v[60:61], v[58:59], v[60:61], 0x3efa01997c89e6b0
	s_delay_alu instid0(VALU_DEP_1) | instskip(SKIP_2) | instid1(VALU_DEP_3)
	v_fmaak_f64 v[60:61], v[58:59], v[60:61], 0x3f2a01a014761f6e
	v_add_f64_e64 v[36:37], v[36:37], -v[54:55]
	v_trunc_f64_e32 v[54:55], v[44:45]
	v_fmaak_f64 v[60:61], v[58:59], v[60:61], 0x3f56c16c1852b7b0
	s_delay_alu instid0(VALU_DEP_1) | instskip(NEXT) | instid1(VALU_DEP_1)
	v_fmaak_f64 v[60:61], v[58:59], v[60:61], 0x3f81111111122322
	v_fmaak_f64 v[60:61], v[58:59], v[60:61], 0x3fa55555555502a1
	s_delay_alu instid0(VALU_DEP_1) | instskip(NEXT) | instid1(VALU_DEP_1)
	v_fmaak_f64 v[60:61], v[58:59], v[60:61], 0x3fc5555555555511
	v_fmaak_f64 v[60:61], v[58:59], v[60:61], 0x3fe000000000000b
	s_delay_alu instid0(VALU_DEP_1) | instskip(NEXT) | instid1(VALU_DEP_1)
	v_fma_f64 v[60:61], v[58:59], v[60:61], 1.0
	v_fma_f64 v[58:59], v[58:59], v[60:61], 1.0
	s_delay_alu instid0(VALU_DEP_1) | instskip(NEXT) | instid1(VALU_DEP_1)
	v_ldexp_f64 v[52:53], v[58:59], v52
	v_cndmask_b32_e64 v53, 0x7ff00000, v53, s8
	v_cmp_eq_f64_e64 s8, v[54:55], v[44:45]
	v_add_f64_e32 v[54:55], -1.0, v[32:33]
	s_delay_alu instid0(VALU_DEP_4) | instskip(NEXT) | instid1(VALU_DEP_4)
	v_dual_mul_f64 v[44:45], v[56:57], v[34:35] :: v_dual_cndmask_b32 v52, 0, v52, s7
	v_cndmask_b32_e64 v53, 0, v53, s9
	v_cmp_class_f64_e64 s9, v[6:7], 0x204
	s_delay_alu instid0(VALU_DEP_2)
	v_fma_f64 v[50:51], v[52:53], v[50:51], v[52:53]
	v_cmp_class_f64_e64 s7, v[52:53], 0x204
	s_and_b32 vcc_lo, s8, vcc_lo
	v_add_f64_e64 v[48:49], v[48:49], -v[54:55]
	v_mul_f64_e32 v[54:55], v[32:33], v[44:45]
	v_dual_cndmask_b32 v52, v50, v52, s7 :: v_dual_cndmask_b32 v50, v51, v53, s7
	v_cndmask_b32_e32 v51, 0x3ff00000, v7, vcc_lo
	v_cmp_gt_f64_e64 s7, 0, v[6:7]
	s_delay_alu instid0(VALU_DEP_3) | instskip(NEXT) | instid1(VALU_DEP_3)
	v_cndmask_b32_e64 v53, 0, v52, s8
	v_bfi_b32 v58, 0x7fffffff, v50, v51
	v_add_f64_e64 v[50:51], v[46:47], -v[20:21]
	v_fma_f64 v[32:33], v[44:45], v[32:33], -v[54:55]
	s_delay_alu instid0(VALU_DEP_2) | instskip(NEXT) | instid1(VALU_DEP_2)
	v_dual_add_f64 v[46:47], v[46:47], -v[50:51] :: v_dual_cndmask_b32 v52, v52, v53, s7
	v_fmac_f64_e32 v[32:33], v[44:45], v[48:49]
	v_cndmask_b32_e64 v48, 0x7ff80000, v58, s8
	v_cmp_eq_f64_e64 s8, 0, v[6:7]
	s_delay_alu instid0(VALU_DEP_2) | instskip(SKIP_1) | instid1(VALU_DEP_3)
	v_dual_cndmask_b32 v58, v58, v48, s7 :: v_dual_cndmask_b32 v48, 0, v7, vcc_lo
	v_add_f64_e64 v[46:47], v[46:47], -v[20:21]
	v_cndmask_b32_e64 v49, 0x7ff00000, 0, s8
	s_or_b32 vcc_lo, s8, s9
	s_delay_alu instid0(SALU_CYCLE_1) | instskip(NEXT) | instid1(VALU_DEP_2)
	v_cndmask_b32_e64 v20, v52, 0, vcc_lo
	v_bfi_b32 v53, 0x7fffffff, v49, v48
	v_fma_f64 v[48:49], -v[22:23], v[30:31], 1.0
	s_delay_alu instid0(VALU_DEP_2) | instskip(SKIP_2) | instid1(VALU_DEP_3)
	v_cndmask_b32_e32 v21, v58, v53, vcc_lo
	v_add_f64_e32 v[52:53], v[54:55], v[32:33]
	v_add_f64_e32 v[36:37], v[36:37], v[46:47]
	v_add_f64_e32 v[20:21], 1.0, v[20:21]
	v_fmac_f64_e32 v[30:31], v[30:31], v[48:49]
	s_delay_alu instid0(VALU_DEP_4) | instskip(SKIP_3) | instid1(VALU_DEP_4)
	v_add_f64_e64 v[48:49], v[56:57], -v[52:53]
	v_add_f64_e64 v[46:47], v[52:53], -v[54:55]
	v_add_f64_e32 v[36:37], v[50:51], v[36:37]
	v_div_scale_f64 v[54:55], null, v[20:21], v[20:21], 1.0
	v_add_f64_e64 v[56:57], v[56:57], -v[48:49]
	s_delay_alu instid0(VALU_DEP_4) | instskip(NEXT) | instid1(VALU_DEP_4)
	v_add_f64_e64 v[32:33], v[46:47], -v[32:33]
	v_mul_f64_e32 v[18:19], v[18:19], v[36:37]
	s_delay_alu instid0(VALU_DEP_4) | instskip(NEXT) | instid1(VALU_DEP_3)
	v_rcp_f64_e32 v[46:47], v[54:55]
	v_add_f64_e64 v[52:53], v[56:57], -v[52:53]
	v_fma_f64 v[56:57], -v[42:43], v[40:41], 1.0
	s_delay_alu instid0(TRANS32_DEP_1) | instskip(NEXT) | instid1(VALU_DEP_3)
	v_fma_f64 v[50:51], -v[54:55], v[46:47], 1.0
	v_add_f64_e32 v[32:33], v[32:33], v[52:53]
	s_delay_alu instid0(VALU_DEP_3)
	v_fmac_f64_e32 v[40:41], v[40:41], v[56:57]
	v_div_scale_f64 v[56:57], s7, 0xc11cafc0, v[4:5], 0xc11cafc0
	v_div_scale_f64 v[52:53], s8, 0xc0f6f300, v[4:5], 0xc0f6f300
	v_fmac_f64_e32 v[46:47], v[46:47], v[50:51]
	v_add_f64_e32 v[36:37], v[48:49], v[32:33]
	v_div_scale_f64 v[48:49], s9, s[10:11], v[4:5], s[10:11]
	v_mul_f64_e32 v[50:51], v[56:57], v[38:39]
	v_mul_f64_e32 v[58:59], v[52:53], v[30:31]
	v_add_f64_e32 v[32:33], v[28:29], v[18:19]
	v_mul_f64_e32 v[34:35], v[34:35], v[36:37]
	v_mul_f64_e32 v[60:61], v[48:49], v[40:41]
	v_fma_f64 v[26:27], -v[26:27], v[50:51], v[56:57]
	v_fma_f64 v[56:57], -v[54:55], v[46:47], 1.0
	v_fma_f64 v[52:53], -v[22:23], v[58:59], v[52:53]
	v_div_scale_f64 v[22:23], vcc_lo, 1.0, v[20:21], 1.0
	v_add_f64_e64 v[28:29], v[32:33], -v[28:29]
	v_add_f64_e32 v[36:37], v[44:45], v[34:35]
	v_fma_f64 v[48:49], -v[42:43], v[60:61], v[48:49]
	v_mul_f64_e32 v[42:43], v[32:33], v[32:33]
	v_fmac_f64_e32 v[46:47], v[46:47], v[56:57]
	v_add_f64_e64 v[18:19], v[18:19], -v[28:29]
	v_add_f64_e64 v[28:29], v[36:37], -v[44:45]
	s_delay_alu instid0(VALU_DEP_3) | instskip(NEXT) | instid1(VALU_DEP_3)
	v_mul_f64_e32 v[56:57], v[22:23], v[46:47]
	v_add_f64_e32 v[44:45], v[18:19], v[18:19]
	s_delay_alu instid0(VALU_DEP_3) | instskip(NEXT) | instid1(VALU_DEP_3)
	v_add_f64_e64 v[34:35], v[34:35], -v[28:29]
	v_fma_f64 v[22:23], -v[54:55], v[56:57], v[22:23]
	v_mul_f64_e32 v[54:55], v[36:37], v[36:37]
	s_delay_alu instid0(VALU_DEP_3) | instskip(NEXT) | instid1(VALU_DEP_3)
	v_add_f64_e32 v[28:29], v[34:35], v[34:35]
	v_div_fmas_f64 v[22:23], v[22:23], v[46:47], v[56:57]
	s_mov_b32 vcc_lo, s7
	v_fma_f64 v[46:47], v[32:33], v[32:33], -v[42:43]
	v_div_fmas_f64 v[26:27], v[26:27], v[38:39], v[50:51]
	v_div_scale_f64 v[50:51], null, 0x40f86a00, 0x40f86a00, v[4:5]
	v_fma_f64 v[56:57], v[36:37], v[36:37], -v[54:55]
	s_mov_b32 vcc_lo, s8
	v_div_fixup_f64 v[20:21], v[22:23], v[20:21], 1.0
	v_fmac_f64_e32 v[46:47], v[32:33], v[44:45]
	s_delay_alu instid0(VALU_DEP_4) | instskip(NEXT) | instid1(VALU_DEP_3)
	v_rcp_f64_e32 v[44:45], v[50:51]
	v_fmac_f64_e32 v[56:57], v[36:37], v[28:29]
	s_delay_alu instid0(VALU_DEP_2) | instskip(NEXT) | instid1(TRANS32_DEP_1)
	v_add_f64_e32 v[38:39], v[42:43], v[46:47]
	v_fma_f64 v[28:29], -v[50:51], v[44:45], 1.0
	s_delay_alu instid0(VALU_DEP_1) | instskip(SKIP_4) | instid1(VALU_DEP_4)
	v_fmac_f64_e32 v[44:45], v[44:45], v[28:29]
	v_div_fmas_f64 v[28:29], v[52:53], v[30:31], v[58:59]
	v_add_f64_e32 v[52:53], v[54:55], v[56:57]
	s_mov_b32 vcc_lo, s9
	v_div_fmas_f64 v[30:31], v[48:49], v[40:41], v[60:61]
	v_fma_f64 v[40:41], -v[50:51], v[44:45], 1.0
	s_delay_alu instid0(VALU_DEP_3) | instskip(SKIP_1) | instid1(VALU_DEP_4)
	v_fmamk_f64 v[48:49], v[52:53], 0x3fbdee674222de17, v[16:17]
	v_fmac_f64_e32 v[16:17], 0x3fbdee674222de17, v[38:39]
	v_div_fixup_f64 v[30:31], v[30:31], v[4:5], s[10:11]
	v_cmp_gt_f64_e64 s10, 0, v[14:15]
	s_delay_alu instid0(VALU_DEP_4) | instskip(NEXT) | instid1(VALU_DEP_1)
	v_fmaak_f64 v[48:49], v[52:53], v[48:49], 0x3fbe25e43abe935a
	v_fmaak_f64 v[48:49], v[52:53], v[48:49], 0x3fc110ef47e6c9c2
	v_fmac_f64_e32 v[44:45], v[44:45], v[40:41]
	v_mov_b64_e32 v[40:41], 0x3fbe25e43abe935a
	s_delay_alu instid0(VALU_DEP_1) | instskip(SKIP_1) | instid1(VALU_DEP_1)
	v_fmac_f64_e32 v[40:41], v[38:39], v[16:17]
	v_div_scale_f64 v[16:17], vcc_lo, v[4:5], 0x40f86a00, v[4:5]
	v_mul_f64_e32 v[58:59], v[16:17], v[44:45]
	s_delay_alu instid0(VALU_DEP_1) | instskip(SKIP_1) | instid1(VALU_DEP_1)
	v_fma_f64 v[50:51], -v[50:51], v[58:59], v[16:17]
	v_mov_b64_e32 v[16:17], 0x3fc110ef47e6c9c2
	v_fmac_f64_e32 v[16:17], v[38:39], v[40:41]
	v_add_f64_e64 v[40:41], v[52:53], -v[54:55]
	v_mov_b64_e32 v[54:55], 0x3fc3b13bcfa74449
	v_div_fmas_f64 v[44:45], v[50:51], v[44:45], v[58:59]
	s_delay_alu instid0(VALU_DEP_2) | instskip(SKIP_3) | instid1(VALU_DEP_3)
	v_fmac_f64_e32 v[54:55], v[38:39], v[16:17]
	v_fmaak_f64 v[16:17], v[52:53], v[48:49], 0x3fc3b13bcfa74449
	v_add_f64_e64 v[40:41], v[56:57], -v[40:41]
	v_mul_f64_e32 v[56:57], v[36:37], v[52:53]
	v_fmaak_f64 v[16:17], v[52:53], v[16:17], 0x3fc745d171bf3c30
	s_delay_alu instid0(VALU_DEP_1) | instskip(NEXT) | instid1(VALU_DEP_1)
	v_fmaak_f64 v[16:17], v[52:53], v[16:17], 0x3fcc71c71c7792ce
	v_fmaak_f64 v[16:17], v[52:53], v[16:17], 0x3fd24924924920da
	v_div_fixup_f64 v[44:45], v[44:45], 0x40f86a00, v[4:5]
	s_delay_alu instid0(VALU_DEP_2) | instskip(SKIP_1) | instid1(VALU_DEP_2)
	v_fmaak_f64 v[16:17], v[52:53], v[16:17], 0x3fd999999999999c
	v_fma_f64 v[48:49], v[52:53], v[36:37], -v[56:57]
	v_mul_f64_e32 v[60:61], v[52:53], v[16:17]
	s_delay_alu instid0(VALU_DEP_4) | instskip(NEXT) | instid1(VALU_DEP_3)
	v_cmp_gt_f64_e32 vcc_lo, 0x10000000, v[44:45]
	v_fmac_f64_e32 v[48:49], v[52:53], v[34:35]
	s_delay_alu instid0(VALU_DEP_3) | instskip(SKIP_1) | instid1(VALU_DEP_3)
	v_fma_f64 v[52:53], v[52:53], v[16:17], -v[60:61]
	v_ldexp_f64 v[34:35], v[34:35], 1
	v_fmac_f64_e32 v[48:49], v[40:41], v[36:37]
	s_delay_alu instid0(VALU_DEP_3) | instskip(SKIP_4) | instid1(VALU_DEP_4)
	v_fmac_f64_e32 v[52:53], v[40:41], v[16:17]
	v_mov_b64_e32 v[40:41], 0x3fc745d171bf3c30
	v_add_f64_e64 v[16:17], v[38:39], -v[42:43]
	v_mov_b64_e32 v[42:43], 0x3fcc71c71c7792ce
	v_ldexp_f64 v[36:37], v[36:37], 1
	v_fmac_f64_e32 v[40:41], v[38:39], v[54:55]
	s_delay_alu instid0(VALU_DEP_4) | instskip(NEXT) | instid1(VALU_DEP_2)
	v_add_f64_e64 v[16:17], v[46:47], -v[16:17]
	v_fmac_f64_e32 v[42:43], v[38:39], v[40:41]
	v_add_f64_e32 v[40:41], v[56:57], v[48:49]
	s_delay_alu instid0(VALU_DEP_1) | instskip(NEXT) | instid1(VALU_DEP_1)
	v_add_f64_e64 v[46:47], v[40:41], -v[56:57]
	v_add_f64_e64 v[48:49], v[48:49], -v[46:47]
	v_mov_b64_e32 v[46:47], 0x3fd24924924920da
	s_delay_alu instid0(VALU_DEP_1) | instskip(SKIP_1) | instid1(VALU_DEP_1)
	v_fmac_f64_e32 v[46:47], v[38:39], v[42:43]
	v_add_f64_e32 v[42:43], v[60:61], v[52:53]
	v_add_f64_e64 v[54:55], v[42:43], -v[60:61]
	s_delay_alu instid0(VALU_DEP_1) | instskip(SKIP_1) | instid1(VALU_DEP_1)
	v_add_f64_e64 v[52:53], v[52:53], -v[54:55]
	v_mov_b64_e32 v[54:55], 0x3fd999999999999c
	v_fmac_f64_e32 v[54:55], v[38:39], v[46:47]
	v_add_f64_e32 v[46:47], 0x3fe5555555555555, v[42:43]
	s_delay_alu instid0(VALU_DEP_4) | instskip(NEXT) | instid1(VALU_DEP_2)
	v_add_f64_e32 v[52:53], 0x3c8543b0d5df274d, v[52:53]
	v_add_f64_e32 v[56:57], 0xbfe5555555555555, v[46:47]
	s_delay_alu instid0(VALU_DEP_1) | instskip(SKIP_1) | instid1(VALU_DEP_2)
	v_add_f64_e64 v[42:43], v[42:43], -v[56:57]
	v_mul_f64_e32 v[56:57], v[38:39], v[54:55]
	v_add_f64_e32 v[52:53], v[52:53], v[42:43]
	s_delay_alu instid0(VALU_DEP_2) | instskip(NEXT) | instid1(VALU_DEP_2)
	v_fma_f64 v[50:51], v[38:39], v[54:55], -v[56:57]
	v_add_f64_e32 v[58:59], v[46:47], v[52:53]
	s_delay_alu instid0(VALU_DEP_2) | instskip(SKIP_1) | instid1(VALU_DEP_3)
	v_fmac_f64_e32 v[50:51], v[16:17], v[54:55]
	v_cndmask_b32_e64 v54, 0, 0x100, vcc_lo
	v_add_f64_e64 v[46:47], v[46:47], -v[58:59]
	v_mul_f64_e32 v[42:43], v[40:41], v[58:59]
	s_delay_alu instid0(VALU_DEP_2) | instskip(NEXT) | instid1(VALU_DEP_2)
	v_add_f64_e32 v[52:53], v[52:53], v[46:47]
	v_fma_f64 v[46:47], v[40:41], v[58:59], -v[42:43]
	s_delay_alu instid0(VALU_DEP_1) | instskip(SKIP_2) | instid1(VALU_DEP_3)
	v_fmac_f64_e32 v[46:47], v[40:41], v[52:53]
	v_mul_f64_e32 v[40:41], v[32:33], v[38:39]
	v_add_f64_e32 v[52:53], v[56:57], v[50:51]
	v_fmac_f64_e32 v[46:47], v[48:49], v[58:59]
	s_delay_alu instid0(VALU_DEP_3) | instskip(SKIP_1) | instid1(VALU_DEP_4)
	v_fma_f64 v[48:49], v[38:39], v[32:33], -v[40:41]
	v_ldexp_f64 v[58:59], v[44:45], v54
	v_add_f64_e64 v[44:45], v[52:53], -v[56:57]
	v_add_f64_e32 v[54:55], 0x3fe5555555555555, v[52:53]
	v_div_scale_f64 v[56:57], null, v[4:5], v[4:5], s[14:15]
	v_fmac_f64_e32 v[48:49], v[38:39], v[18:19]
	v_rsq_f64_e32 v[38:39], v[58:59]
	s_delay_alu instid0(VALU_DEP_4) | instskip(NEXT) | instid1(VALU_DEP_4)
	v_add_f64_e64 v[44:45], v[50:51], -v[44:45]
	v_add_f64_e32 v[50:51], 0xbfe5555555555555, v[54:55]
	v_ldexp_f64 v[18:19], v[18:19], 1
	s_delay_alu instid0(VALU_DEP_4) | instskip(SKIP_3) | instid1(TRANS32_DEP_1)
	v_fmac_f64_e32 v[48:49], v[16:17], v[32:33]
	v_ldexp_f64 v[32:33], v[32:33], 1
	v_add_f64_e32 v[44:45], 0x3c8543b0d5df274d, v[44:45]
	v_add_f64_e64 v[50:51], v[52:53], -v[50:51]
	v_mul_f64_e32 v[60:61], v[58:59], v[38:39]
	v_mul_f64_e32 v[38:39], 0.5, v[38:39]
	s_delay_alu instid0(VALU_DEP_3) | instskip(NEXT) | instid1(VALU_DEP_2)
	v_add_f64_e32 v[44:45], v[44:45], v[50:51]
	v_fma_f64 v[52:53], -v[38:39], v[60:61], 0.5
	s_delay_alu instid0(VALU_DEP_2) | instskip(NEXT) | instid1(VALU_DEP_2)
	v_add_f64_e32 v[16:17], v[54:55], v[44:45]
	v_fmac_f64_e32 v[60:61], v[60:61], v[52:53]
	v_fmac_f64_e32 v[38:39], v[38:39], v[52:53]
	s_delay_alu instid0(VALU_DEP_2) | instskip(NEXT) | instid1(VALU_DEP_1)
	v_fma_f64 v[52:53], -v[60:61], v[60:61], v[58:59]
	v_fmac_f64_e32 v[60:61], v[52:53], v[38:39]
	s_delay_alu instid0(VALU_DEP_1) | instskip(NEXT) | instid1(VALU_DEP_1)
	v_fma_f64 v[50:51], -v[60:61], v[60:61], v[58:59]
	v_fmac_f64_e32 v[60:61], v[50:51], v[38:39]
	v_add_f64_e32 v[38:39], v[40:41], v[48:49]
	v_add_f64_e64 v[50:51], v[54:55], -v[16:17]
	s_delay_alu instid0(VALU_DEP_2) | instskip(NEXT) | instid1(VALU_DEP_2)
	v_mul_f64_e32 v[52:53], v[38:39], v[16:17]
	v_add_f64_e32 v[44:45], v[44:45], v[50:51]
	v_subrev_co_ci_u32_e64 v50, null, 0, v68, s5
	s_delay_alu instid0(VALU_DEP_3) | instskip(NEXT) | instid1(VALU_DEP_1)
	v_fma_f64 v[54:55], v[38:39], v[16:17], -v[52:53]
	v_fmac_f64_e32 v[54:55], v[38:39], v[44:45]
	v_add_f64_e64 v[38:39], v[38:39], -v[40:41]
	v_rcp_f64_e32 v[44:45], v[56:57]
	v_div_scale_f64 v[40:41], null, v[4:5], v[4:5], 0xc12345b6
	s_delay_alu instid0(VALU_DEP_2) | instskip(SKIP_2) | instid1(VALU_DEP_2)
	v_add_f64_e64 v[38:39], v[48:49], -v[38:39]
	v_cndmask_b32_e64 v48, 0, 0xffffff80, vcc_lo
	v_cmp_class_f64_e64 vcc_lo, v[58:59], 0x260
	v_ldexp_f64 v[48:49], v[60:61], v48
	s_delay_alu instid0(VALU_DEP_4) | instskip(SKIP_1) | instid1(VALU_DEP_2)
	v_fmac_f64_e32 v[54:55], v[38:39], v[16:17]
	v_rcp_f64_e32 v[38:39], v[40:41]
	v_dual_cndmask_b32 v17, v49, v59 :: v_dual_cndmask_b32 v16, v48, v58
	s_delay_alu instid0(TRANS32_DEP_2) | instskip(SKIP_1) | instid1(VALU_DEP_2)
	v_fma_f64 v[48:49], -v[56:57], v[44:45], 1.0
	v_cvt_f64_i32_e32 v[58:59], v50
	v_fmac_f64_e32 v[44:45], v[44:45], v[48:49]
	s_delay_alu instid0(TRANS32_DEP_1) | instskip(NEXT) | instid1(VALU_DEP_1)
	v_fma_f64 v[48:49], -v[40:41], v[38:39], 1.0
	v_fmac_f64_e32 v[38:39], v[38:39], v[48:49]
	s_delay_alu instid0(VALU_DEP_4) | instskip(NEXT) | instid1(VALU_DEP_1)
	v_mul_f64_e32 v[48:49], 0x3fe62e42fefa39ef, v[58:59]
	v_fma_f64 v[50:51], v[58:59], s[12:13], -v[48:49]
	s_delay_alu instid0(VALU_DEP_1) | instskip(SKIP_1) | instid1(VALU_DEP_1)
	v_fmac_f64_e32 v[50:51], 0x3c7abc9e3b39803f, v[58:59]
	v_fma_f64 v[58:59], -v[56:57], v[44:45], 1.0
	v_fmac_f64_e32 v[44:45], v[44:45], v[58:59]
	v_fma_f64 v[58:59], -v[40:41], v[38:39], 1.0
	s_delay_alu instid0(VALU_DEP_1) | instskip(SKIP_1) | instid1(VALU_DEP_1)
	v_fmac_f64_e32 v[38:39], v[38:39], v[58:59]
	v_frexp_exp_i32_f64_e32 v58, v[10:11]
	v_subrev_co_ci_u32_e64 v58, null, 0, v58, s6
	v_cmp_eq_f64_e64 s6, 1.0, v[10:11]
	s_delay_alu instid0(VALU_DEP_2) | instskip(NEXT) | instid1(VALU_DEP_1)
	v_cvt_f64_i32_e32 v[58:59], v58
	v_mul_f64_e32 v[60:61], 0x3fe62e42fefa39ef, v[58:59]
	s_delay_alu instid0(VALU_DEP_1) | instskip(SKIP_2) | instid1(VALU_DEP_3)
	v_fma_f64 v[62:63], v[58:59], s[12:13], -v[60:61]
	v_cmp_eq_f64_e64 s12, 0, v[10:11]
	v_cmp_gt_f64_e64 s13, 0, v[10:11]
	v_fmac_f64_e32 v[62:63], 0x3c7abc9e3b39803f, v[58:59]
	v_add_f64_e32 v[58:59], v[42:43], v[46:47]
	s_delay_alu instid0(VALU_DEP_1) | instskip(SKIP_1) | instid1(VALU_DEP_2)
	v_add_f64_e64 v[42:43], v[58:59], -v[42:43]
	v_add_f64_e32 v[64:65], v[36:37], v[58:59]
	v_add_f64_e64 v[42:43], v[46:47], -v[42:43]
	s_delay_alu instid0(VALU_DEP_2) | instskip(NEXT) | instid1(VALU_DEP_2)
	v_add_f64_e64 v[36:37], v[64:65], -v[36:37]
	v_add_f64_e32 v[34:35], v[34:35], v[42:43]
	s_delay_alu instid0(VALU_DEP_2) | instskip(SKIP_1) | instid1(VALU_DEP_2)
	v_add_f64_e64 v[58:59], v[58:59], -v[36:37]
	v_div_scale_f64 v[42:43], s5, s[14:15], v[4:5], s[14:15]
	v_add_f64_e32 v[34:35], v[34:35], v[58:59]
	s_delay_alu instid0(VALU_DEP_2) | instskip(NEXT) | instid1(VALU_DEP_2)
	v_mul_f64_e32 v[36:37], v[42:43], v[44:45]
	v_add_f64_e32 v[58:59], v[64:65], v[34:35]
	s_delay_alu instid0(VALU_DEP_2) | instskip(SKIP_1) | instid1(VALU_DEP_1)
	v_fma_f64 v[46:47], -v[56:57], v[36:37], v[42:43]
	v_add_f64_e32 v[42:43], v[60:61], v[62:63]
	v_add_f64_e64 v[56:57], v[42:43], -v[60:61]
	s_delay_alu instid0(VALU_DEP_4) | instskip(NEXT) | instid1(VALU_DEP_2)
	v_add_f64_e64 v[60:61], v[58:59], -v[64:65]
	v_add_f64_e64 v[56:57], v[62:63], -v[56:57]
	s_delay_alu instid0(VALU_DEP_2) | instskip(SKIP_1) | instid1(VALU_DEP_1)
	v_add_f64_e64 v[34:35], v[34:35], -v[60:61]
	v_add_f64_e32 v[60:61], v[52:53], v[54:55]
	v_add_f64_e64 v[52:53], v[60:61], -v[52:53]
	s_delay_alu instid0(VALU_DEP_1) | instskip(SKIP_1) | instid1(VALU_DEP_2)
	v_add_f64_e64 v[52:53], v[54:55], -v[52:53]
	v_add_f64_e32 v[54:55], v[42:43], v[58:59]
	v_add_f64_e32 v[18:19], v[18:19], v[52:53]
	s_delay_alu instid0(VALU_DEP_2) | instskip(SKIP_1) | instid1(VALU_DEP_2)
	v_add_f64_e64 v[62:63], v[54:55], -v[42:43]
	v_add_f64_e32 v[52:53], v[48:49], v[50:51]
	v_add_f64_e64 v[58:59], v[58:59], -v[62:63]
	v_add_f64_e64 v[62:63], v[54:55], -v[62:63]
	s_delay_alu instid0(VALU_DEP_3) | instskip(NEXT) | instid1(VALU_DEP_2)
	v_add_f64_e64 v[48:49], v[52:53], -v[48:49]
	v_add_f64_e64 v[42:43], v[42:43], -v[62:63]
	v_add_f64_e32 v[62:63], v[32:33], v[60:61]
	s_delay_alu instid0(VALU_DEP_3) | instskip(NEXT) | instid1(VALU_DEP_3)
	v_add_f64_e64 v[48:49], v[50:51], -v[48:49]
	v_add_f64_e32 v[42:43], v[58:59], v[42:43]
	s_delay_alu instid0(VALU_DEP_3) | instskip(NEXT) | instid1(VALU_DEP_1)
	v_add_f64_e64 v[32:33], v[62:63], -v[32:33]
	v_add_f64_e64 v[32:33], v[60:61], -v[32:33]
	s_delay_alu instid0(VALU_DEP_1) | instskip(SKIP_1) | instid1(VALU_DEP_1)
	v_add_f64_e32 v[18:19], v[18:19], v[32:33]
	v_add_f64_e32 v[32:33], v[56:57], v[34:35]
	v_add_f64_e64 v[50:51], v[32:33], -v[56:57]
	s_delay_alu instid0(VALU_DEP_1) | instskip(SKIP_3) | instid1(VALU_DEP_3)
	v_add_f64_e64 v[34:35], v[34:35], -v[50:51]
	v_add_f64_e64 v[50:51], v[32:33], -v[50:51]
	v_add_f64_e32 v[32:33], v[32:33], v[42:43]
	v_add_f64_e32 v[42:43], v[62:63], v[18:19]
	v_add_f64_e64 v[50:51], v[56:57], -v[50:51]
	s_delay_alu instid0(VALU_DEP_2) | instskip(NEXT) | instid1(VALU_DEP_2)
	v_add_f64_e64 v[56:57], v[42:43], -v[62:63]
	v_add_f64_e32 v[34:35], v[34:35], v[50:51]
	v_add_f64_e32 v[50:51], v[54:55], v[32:33]
	s_delay_alu instid0(VALU_DEP_3) | instskip(SKIP_1) | instid1(VALU_DEP_3)
	v_add_f64_e64 v[18:19], v[18:19], -v[56:57]
	v_add_f64_e32 v[56:57], v[52:53], v[42:43]
	v_add_f64_e64 v[54:55], v[50:51], -v[54:55]
	s_delay_alu instid0(VALU_DEP_3) | instskip(NEXT) | instid1(VALU_DEP_2)
	v_add_f64_e32 v[58:59], v[48:49], v[18:19]
	v_add_f64_e64 v[32:33], v[32:33], -v[54:55]
	s_delay_alu instid0(VALU_DEP_4) | instskip(NEXT) | instid1(VALU_DEP_2)
	v_add_f64_e64 v[54:55], v[56:57], -v[52:53]
	v_add_f64_e32 v[34:35], v[34:35], v[32:33]
	s_delay_alu instid0(VALU_DEP_2) | instskip(SKIP_2) | instid1(VALU_DEP_2)
	v_add_f64_e64 v[42:43], v[42:43], -v[54:55]
	v_add_f64_e64 v[54:55], v[56:57], -v[54:55]
	v_add_f64_e32 v[32:33], 1.0, v[16:17]
	v_add_f64_e64 v[52:53], v[52:53], -v[54:55]
	v_add_f64_e64 v[54:55], v[58:59], -v[48:49]
	s_delay_alu instid0(VALU_DEP_2) | instskip(NEXT) | instid1(VALU_DEP_2)
	v_add_f64_e32 v[16:17], v[42:43], v[52:53]
	v_add_f64_e64 v[42:43], v[58:59], -v[54:55]
	v_div_scale_f64 v[52:53], null, v[32:33], v[32:33], 1.0
	v_add_f64_e64 v[18:19], v[18:19], -v[54:55]
	s_delay_alu instid0(VALU_DEP_4) | instskip(NEXT) | instid1(VALU_DEP_4)
	v_add_f64_e32 v[16:17], v[58:59], v[16:17]
	v_add_f64_e64 v[42:43], v[48:49], -v[42:43]
	s_delay_alu instid0(VALU_DEP_4) | instskip(SKIP_1) | instid1(VALU_DEP_2)
	v_rcp_f64_e32 v[48:49], v[52:53]
	v_add_f64_e32 v[58:59], v[50:51], v[34:35]
	v_add_f64_e32 v[18:19], v[18:19], v[42:43]
	s_delay_alu instid0(VALU_DEP_2) | instskip(NEXT) | instid1(TRANS32_DEP_1)
	v_add_f64_e64 v[50:51], v[58:59], -v[50:51]
	v_fma_f64 v[54:55], -v[52:53], v[48:49], 1.0
	s_delay_alu instid0(VALU_DEP_2) | instskip(NEXT) | instid1(VALU_DEP_2)
	v_add_f64_e64 v[34:35], v[34:35], -v[50:51]
	v_fmac_f64_e32 v[48:49], v[48:49], v[54:55]
	v_add_f64_e32 v[54:55], v[56:57], v[16:17]
	s_delay_alu instid0(VALU_DEP_2) | instskip(NEXT) | instid1(VALU_DEP_2)
	v_fma_f64 v[42:43], -v[52:53], v[48:49], 1.0
	v_add_f64_e64 v[56:57], v[54:55], -v[56:57]
	s_delay_alu instid0(VALU_DEP_2) | instskip(NEXT) | instid1(VALU_DEP_2)
	v_fmac_f64_e32 v[48:49], v[48:49], v[42:43]
	v_add_f64_e64 v[16:17], v[16:17], -v[56:57]
	v_div_scale_f64 v[56:57], vcc_lo, 1.0, v[32:33], 1.0
	v_cndmask_b32_e64 v43, 0xbfc99999, v1, s6
	v_cndmask_b32_e64 v42, 0x9999999a, 0, s6
	s_delay_alu instid0(VALU_DEP_1) | instskip(SKIP_3) | instid1(VALU_DEP_1)
	v_cmp_gt_f64_e64 s11, 0, v[42:43]
	v_add_f64_e32 v[18:19], v[18:19], v[16:17]
	v_mul_f64_e32 v[50:51], v[56:57], v[48:49]
	s_xor_b32 s11, s12, s11
	v_fma_f64 v[16:17], -v[52:53], v[50:51], v[56:57]
	v_mul_f64_e32 v[52:53], v[42:43], v[58:59]
	s_delay_alu instid0(VALU_DEP_1) | instskip(SKIP_1) | instid1(VALU_DEP_2)
	v_fma_f64 v[56:57], v[42:43], v[58:59], -v[52:53]
	v_div_scale_f64 v[58:59], s6, 0xc12345b6, v[4:5], 0xc12345b6
	v_fmac_f64_e32 v[56:57], v[42:43], v[34:35]
	v_div_fmas_f64 v[34:35], v[16:17], v[48:49], v[50:51]
	v_add_f64_e32 v[16:17], v[54:55], v[18:19]
	s_mov_b32 vcc_lo, s5
	s_delay_alu instid0(VALU_DEP_4)
	v_mul_f64_e32 v[48:49], v[58:59], v[38:39]
	v_div_fmas_f64 v[36:37], v[46:47], v[44:45], v[36:37]
	v_cmp_class_f64_e64 vcc_lo, v[52:53], 0x204
	v_add_f64_e32 v[44:45], v[52:53], v[56:57]
	v_add_f64_e64 v[46:47], v[16:17], -v[54:55]
	v_mul_f64_e32 v[50:51], v[12:13], v[16:17]
	v_fma_f64 v[40:41], -v[40:41], v[48:49], v[58:59]
	s_delay_alu instid0(VALU_DEP_4) | instskip(NEXT) | instid1(VALU_DEP_4)
	v_dual_cndmask_b32 v55, v45, v53 :: v_dual_cndmask_b32 v54, v44, v52
	v_add_f64_e64 v[18:19], v[18:19], -v[46:47]
	s_delay_alu instid0(VALU_DEP_4)
	v_fma_f64 v[46:47], v[12:13], v[16:17], -v[50:51]
	s_mov_b32 vcc_lo, s6
	v_add_f64_e64 v[44:45], v[44:45], -v[52:53]
	v_mul_f64_e32 v[52:53], v[14:15], v[16:17]
	v_div_fmas_f64 v[40:41], v[40:41], v[38:39], v[48:49]
	v_cmp_class_f64_e64 vcc_lo, v[50:51], 0x204
	v_cmp_neq_f64_e64 s5, 0x7ff00000, |v[54:55]|
	v_fmac_f64_e32 v[46:47], v[12:13], v[18:19]
	v_add_f64_e64 v[44:45], v[56:57], -v[44:45]
	v_fma_f64 v[56:57], v[14:15], v[16:17], -v[52:53]
	s_delay_alu instid0(VALU_DEP_2) | instskip(NEXT) | instid1(VALU_DEP_2)
	v_dual_add_f64 v[38:39], v[50:51], v[46:47] :: v_dual_cndmask_b32 v45, 0, v45, s5
	v_fmac_f64_e32 v[56:57], v[14:15], v[18:19]
	s_delay_alu instid0(VALU_DEP_2) | instskip(NEXT) | instid1(VALU_DEP_3)
	v_dual_cndmask_b32 v44, 0, v44, s5 :: v_dual_cndmask_b32 v59, v39, v51, vcc_lo
	v_cndmask_b32_e32 v58, v38, v50, vcc_lo
	v_add_f64_e64 v[38:39], v[38:39], -v[50:51]
	s_delay_alu instid0(VALU_DEP_4) | instskip(SKIP_1) | instid1(VALU_DEP_4)
	v_add_f64_e32 v[48:49], v[52:53], v[56:57]
	v_cmp_class_f64_e64 vcc_lo, v[52:53], 0x204
	v_cmp_nlt_f64_e64 s6, 0x40900000, v[58:59]
	v_cmp_ngt_f64_e64 s7, 0xc090cc00, v[58:59]
	v_add_f64_e64 v[38:39], v[46:47], -v[38:39]
	v_mul_f64_e32 v[46:47], 0x3ff71547652b82fe, v[54:55]
	v_dual_cndmask_b32 v51, v49, v53 :: v_dual_cndmask_b32 v50, v48, v52
	v_add_f64_e64 v[48:49], v[48:49], -v[52:53]
	v_cmp_neq_f64_e64 vcc_lo, 0x7ff00000, |v[58:59]|
	s_delay_alu instid0(VALU_DEP_3) | instskip(SKIP_3) | instid1(VALU_DEP_1)
	v_cmp_neq_f64_e64 s5, 0x7ff00000, |v[50:51]|
	v_cmp_nlt_f64_e64 s8, 0x40900000, v[50:51]
	v_cmp_ngt_f64_e64 s9, 0xc090cc00, v[50:51]
	v_rndne_f64_e32 v[46:47], v[46:47]
	v_fmamk_f64 v[52:53], v[46:47], 0xbfe62e42fefa39ef, v[54:55]
	v_cvt_i32_f64_e32 v1, v[46:47]
	s_delay_alu instid0(VALU_DEP_2) | instskip(SKIP_1) | instid1(VALU_DEP_2)
	v_fmac_f64_e32 v[52:53], 0xbc7abc9e3b39803f, v[46:47]
	v_add_f64_e64 v[46:47], v[56:57], -v[48:49]
	v_fmamk_f64 v[48:49], v[52:53], 0x3e5ade156a5dcb37, v[24:25]
	s_delay_alu instid0(VALU_DEP_2) | instskip(SKIP_1) | instid1(VALU_DEP_3)
	v_dual_cndmask_b32 v47, 0, v47, s5 :: v_dual_cndmask_b32 v46, 0, v46, s5
	v_cmp_ngt_f64_e64 s5, 0xc090cc00, v[54:55]
	v_fmaak_f64 v[48:49], v[52:53], v[48:49], 0x3ec71dee623fde64
	s_delay_alu instid0(VALU_DEP_1) | instskip(NEXT) | instid1(VALU_DEP_1)
	v_fmaak_f64 v[48:49], v[52:53], v[48:49], 0x3efa01997c89e6b0
	v_fmaak_f64 v[48:49], v[52:53], v[48:49], 0x3f2a01a014761f6e
	s_delay_alu instid0(VALU_DEP_1) | instskip(NEXT) | instid1(VALU_DEP_1)
	v_fmaak_f64 v[48:49], v[52:53], v[48:49], 0x3f56c16c1852b7b0
	;; [unrolled: 3-line block ×4, first 2 shown]
	v_fma_f64 v[48:49], v[52:53], v[48:49], 1.0
	s_delay_alu instid0(VALU_DEP_1) | instskip(SKIP_3) | instid1(VALU_DEP_4)
	v_fma_f64 v[52:53], v[52:53], v[48:49], 1.0
	v_dual_cndmask_b32 v49, 0, v39 :: v_dual_cndmask_b32 v48, 0, v38
	v_mul_f64_e32 v[38:39], 0x3ff71547652b82fe, v[58:59]
	v_cmp_nlt_f64_e32 vcc_lo, 0x40900000, v[54:55]
	v_ldexp_f64 v[52:53], v[52:53], v1
	s_delay_alu instid0(VALU_DEP_3) | instskip(NEXT) | instid1(VALU_DEP_2)
	v_rndne_f64_e32 v[38:39], v[38:39]
	v_cndmask_b32_e32 v1, 0x7ff00000, v53, vcc_lo
	s_and_b32 vcc_lo, s5, vcc_lo
	s_delay_alu instid0(VALU_DEP_2) | instskip(NEXT) | instid1(VALU_DEP_1)
	v_fmamk_f64 v[54:55], v[38:39], 0xbfe62e42fefa39ef, v[58:59]
	v_fmac_f64_e32 v[54:55], 0xbc7abc9e3b39803f, v[38:39]
	v_cvt_i32_f64_e32 v38, v[38:39]
	s_delay_alu instid0(VALU_DEP_2) | instskip(NEXT) | instid1(VALU_DEP_1)
	v_fmamk_f64 v[56:57], v[54:55], 0x3e5ade156a5dcb37, v[24:25]
	v_fmaak_f64 v[56:57], v[54:55], v[56:57], 0x3ec71dee623fde64
	s_delay_alu instid0(VALU_DEP_1) | instskip(NEXT) | instid1(VALU_DEP_1)
	v_fmaak_f64 v[56:57], v[54:55], v[56:57], 0x3efa01997c89e6b0
	v_fmaak_f64 v[56:57], v[54:55], v[56:57], 0x3f2a01a014761f6e
	s_delay_alu instid0(VALU_DEP_1) | instskip(NEXT) | instid1(VALU_DEP_1)
	v_fmaak_f64 v[56:57], v[54:55], v[56:57], 0x3f56c16c1852b7b0
	;; [unrolled: 3-line block ×4, first 2 shown]
	v_fma_f64 v[56:57], v[54:55], v[56:57], 1.0
	s_delay_alu instid0(VALU_DEP_1) | instskip(SKIP_1) | instid1(VALU_DEP_2)
	v_fma_f64 v[54:55], v[54:55], v[56:57], 1.0
	v_mul_f64_e32 v[56:57], 0x3ff71547652b82fe, v[50:51]
	v_ldexp_f64 v[38:39], v[54:55], v38
	s_delay_alu instid0(VALU_DEP_2) | instskip(NEXT) | instid1(VALU_DEP_2)
	v_rndne_f64_e32 v[56:57], v[56:57]
	v_cndmask_b32_e64 v39, 0x7ff00000, v39, s6
	s_delay_alu instid0(VALU_DEP_2) | instskip(SKIP_4) | instid1(VALU_DEP_4)
	v_fmamk_f64 v[60:61], v[56:57], 0xbfe62e42fefa39ef, v[50:51]
	v_cvt_i32_f64_e32 v53, v[56:57]
	v_cndmask_b32_e32 v50, 0, v52, vcc_lo
	s_and_b32 vcc_lo, s7, s6
	v_cndmask_b32_e64 v51, 0, v1, s5
	v_fmac_f64_e32 v[60:61], 0xbc7abc9e3b39803f, v[56:57]
	v_cndmask_b32_e32 v56, 0, v38, vcc_lo
	s_and_b32 vcc_lo, s9, s8
	v_cndmask_b32_e64 v57, 0, v39, s7
	v_div_fixup_f64 v[38:39], v[26:27], v[4:5], 0xc11cafc0
	v_div_fixup_f64 v[26:27], v[28:29], v[4:5], 0xc0f6f300
	v_fma_f64 v[44:45], v[50:51], v[44:45], v[50:51]
	v_cmp_class_f64_e64 s5, v[50:51], 0x204
	v_fma_f64 v[48:49], v[56:57], v[48:49], v[56:57]
	v_cmp_class_f64_e64 s6, v[56:57], 0x204
	v_div_fixup_f64 v[28:29], v[36:37], v[4:5], s[14:15]
	v_div_fixup_f64 v[36:37], v[40:41], v[4:5], 0xc12345b6
	v_cmp_class_f64_e64 s14, v[10:11], 0x204
	v_fmamk_f64 v[62:63], v[60:61], 0x3e5ade156a5dcb37, v[24:25]
	v_mul_f64_e32 v[40:41], 0x3ff71547652b82fe, v[38:39]
	v_cmp_ngt_f64_e64 s17, 0xc090cc00, v[26:27]
	s_delay_alu instid0(VALU_DEP_3)
	v_fmaak_f64 v[62:63], v[60:61], v[62:63], 0x3ec71dee623fde64
	v_dual_cndmask_b32 v69, v44, v50, s5 :: v_dual_cndmask_b32 v71, v45, v51, s5
	v_mul_f64_e32 v[44:45], 0x3ff71547652b82fe, v[30:31]
	v_dual_cndmask_b32 v76, v48, v56, s6 :: v_dual_cndmask_b32 v77, v49, v57, s6
	v_mul_f64_e32 v[56:57], 0x3ff71547652b82fe, v[28:29]
	v_fmaak_f64 v[62:63], v[60:61], v[62:63], 0x3efa01997c89e6b0
	v_cmp_eq_f64_e64 s5, 0, v[4:5]
	v_cmp_nlt_f64_e64 s15, 0x40900000, v[36:37]
	v_cmp_ngt_f64_e64 s16, 0xc090cc00, v[36:37]
	s_delay_alu instid0(VALU_DEP_4) | instskip(NEXT) | instid1(VALU_DEP_1)
	v_fmaak_f64 v[62:63], v[60:61], v[62:63], 0x3f2a01a014761f6e
	v_fmaak_f64 v[62:63], v[60:61], v[62:63], 0x3f56c16c1852b7b0
	s_delay_alu instid0(VALU_DEP_1) | instskip(SKIP_1) | instid1(VALU_DEP_2)
	v_fmaak_f64 v[62:63], v[60:61], v[62:63], 0x3f81111111122322
	v_rndne_f64_e32 v[50:51], v[40:41]
	v_fmaak_f64 v[62:63], v[60:61], v[62:63], 0x3fa55555555502a1
	s_delay_alu instid0(VALU_DEP_1) | instskip(NEXT) | instid1(VALU_DEP_1)
	v_fmaak_f64 v[62:63], v[60:61], v[62:63], 0x3fc5555555555511
	v_fmaak_f64 v[62:63], v[60:61], v[62:63], 0x3fe000000000000b
	s_delay_alu instid0(VALU_DEP_1) | instskip(SKIP_1) | instid1(VALU_DEP_1)
	v_fma_f64 v[62:63], v[60:61], v[62:63], 1.0
	v_fmamk_f64 v[66:67], v[50:51], 0xbfe62e42fefa39ef, v[38:39]
	v_fmac_f64_e32 v[66:67], 0xbc7abc9e3b39803f, v[50:51]
	v_cvt_i32_f64_e32 v50, v[50:51]
	s_delay_alu instid0(VALU_DEP_4) | instskip(NEXT) | instid1(VALU_DEP_3)
	v_fma_f64 v[60:61], v[60:61], v[62:63], 1.0
	v_fmamk_f64 v[72:73], v[66:67], 0x3e5ade156a5dcb37, v[24:25]
	s_delay_alu instid0(VALU_DEP_2) | instskip(SKIP_1) | instid1(VALU_DEP_2)
	v_ldexp_f64 v[54:55], v[60:61], v53
	v_mul_f64_e32 v[52:53], 0.5, v[42:43]
	v_cndmask_b32_e64 v55, 0x7ff00000, v55, s8
	s_delay_alu instid0(VALU_DEP_3) | instskip(NEXT) | instid1(VALU_DEP_3)
	v_cndmask_b32_e32 v54, 0, v54, vcc_lo
	v_trunc_f64_e32 v[58:59], v[52:53]
	v_cmp_gt_f64_e64 s8, 0, v[12:13]
	s_delay_alu instid0(VALU_DEP_4) | instskip(NEXT) | instid1(VALU_DEP_1)
	v_cndmask_b32_e64 v55, 0, v55, s9
	v_fma_f64 v[46:47], v[54:55], v[46:47], v[54:55]
	v_cmp_class_f64_e64 s7, v[54:55], 0x204
	v_cmp_neq_f64_e32 vcc_lo, v[58:59], v[52:53]
	v_mul_f64_e32 v[52:53], 0x3ff71547652b82fe, v[26:27]
	s_xor_b32 s8, s5, s8
	v_dual_cndmask_b32 v1, v46, v54, s7 :: v_dual_cndmask_b32 v70, v47, v55, s7
	v_mul_f64_e32 v[54:55], 0x3ff71547652b82fe, v[36:37]
	v_rndne_f64_e32 v[46:47], v[44:45]
	v_rndne_f64_e32 v[44:45], v[56:57]
	;; [unrolled: 1-line block ×3, first 2 shown]
	s_delay_alu instid0(VALU_DEP_4) | instskip(NEXT) | instid1(VALU_DEP_4)
	v_rndne_f64_e32 v[40:41], v[54:55]
	v_fmamk_f64 v[56:57], v[46:47], 0xbfe62e42fefa39ef, v[30:31]
	s_delay_alu instid0(VALU_DEP_4) | instskip(SKIP_1) | instid1(VALU_DEP_3)
	v_fmamk_f64 v[52:53], v[44:45], 0xbfe62e42fefa39ef, v[28:29]
	v_cvt_i32_f64_e32 v51, v[46:47]
	v_fmac_f64_e32 v[56:57], 0xbc7abc9e3b39803f, v[46:47]
	s_delay_alu instid0(VALU_DEP_3) | instskip(SKIP_1) | instid1(VALU_DEP_1)
	v_fmac_f64_e32 v[52:53], 0xbc7abc9e3b39803f, v[44:45]
	v_fmamk_f64 v[62:63], v[48:49], 0xbfe62e42fefa39ef, v[26:27]
	v_fmac_f64_e32 v[62:63], 0xbc7abc9e3b39803f, v[48:49]
	v_cvt_i32_f64_e32 v48, v[48:49]
	v_fmamk_f64 v[54:55], v[40:41], 0xbfe62e42fefa39ef, v[36:37]
	v_mul_f64_e32 v[36:37], 0x3d98fb1c895acc60, v[2:3]
	s_delay_alu instid0(VALU_DEP_2) | instskip(SKIP_2) | instid1(VALU_DEP_1)
	v_fmac_f64_e32 v[54:55], 0xbc7abc9e3b39803f, v[40:41]
	v_fmamk_f64 v[60:61], v[56:57], 0x3e5ade156a5dcb37, v[24:25]
	v_fmamk_f64 v[58:59], v[52:53], 0x3e5ade156a5dcb37, v[24:25]
	v_fmaak_f64 v[58:59], v[52:53], v[58:59], 0x3ec71dee623fde64
	s_delay_alu instid0(VALU_DEP_1) | instskip(SKIP_1) | instid1(VALU_DEP_2)
	v_fmaak_f64 v[58:59], v[52:53], v[58:59], 0x3efa01997c89e6b0
	v_fmamk_f64 v[64:65], v[62:63], 0x3e5ade156a5dcb37, v[24:25]
	v_fmaak_f64 v[58:59], v[52:53], v[58:59], 0x3f2a01a014761f6e
	s_delay_alu instid0(VALU_DEP_1) | instskip(SKIP_1) | instid1(VALU_DEP_2)
	v_fmaak_f64 v[58:59], v[52:53], v[58:59], 0x3f56c16c1852b7b0
	v_fmac_f64_e32 v[24:25], 0x3e5ade156a5dcb37, v[54:55]
	v_fmaak_f64 v[58:59], v[52:53], v[58:59], 0x3f81111111122322
	s_delay_alu instid0(VALU_DEP_1) | instskip(NEXT) | instid1(VALU_DEP_1)
	v_fmaak_f64 v[58:59], v[52:53], v[58:59], 0x3fa55555555502a1
	v_fmaak_f64 v[58:59], v[52:53], v[58:59], 0x3fc5555555555511
	s_delay_alu instid0(VALU_DEP_1) | instskip(SKIP_2) | instid1(VALU_DEP_3)
	v_fmaak_f64 v[58:59], v[52:53], v[58:59], 0x3fe000000000000b
	v_fmac_f64_e32 v[74:75], v[54:55], v[24:25]
	v_trunc_f64_e32 v[24:25], v[12:13]
	v_fma_f64 v[58:59], v[52:53], v[58:59], 1.0
	s_delay_alu instid0(VALU_DEP_2) | instskip(SKIP_2) | instid1(VALU_DEP_4)
	v_cmp_eq_f64_e64 s6, v[24:25], v[12:13]
	v_mov_b64_e32 v[12:13], 0x3efa01997c89e6b0
	v_trunc_f64_e32 v[24:25], v[14:15]
	v_fma_f64 v[52:53], v[52:53], v[58:59], 1.0
	v_cvt_i32_f64_e32 v58, v[40:41]
	s_delay_alu instid0(VALU_DEP_4) | instskip(SKIP_1) | instid1(VALU_DEP_4)
	v_fmac_f64_e32 v[12:13], v[54:55], v[74:75]
	s_and_b32 s4, s6, s4
	v_cmp_eq_f64_e64 s9, v[24:25], v[14:15]
	v_mov_b64_e32 v[14:15], 0x3f2a01a014761f6e
	v_mov_b64_e32 v[24:25], 0x3f56c16c1852b7b0
	s_delay_alu instid0(VALU_DEP_2) | instskip(SKIP_1) | instid1(VALU_DEP_2)
	v_fmac_f64_e32 v[14:15], v[54:55], v[12:13]
	v_trunc_f64_e32 v[12:13], v[42:43]
	v_fmac_f64_e32 v[24:25], v[54:55], v[14:15]
	s_delay_alu instid0(VALU_DEP_2) | instskip(SKIP_4) | instid1(VALU_DEP_4)
	v_cmp_eq_f64_e64 s7, v[12:13], v[42:43]
	v_cndmask_b32_e64 v13, 0x3ff00000, v5, s4
	v_cndmask_b32_e64 v14, 0x7ff00000, 0, s8
	v_dual_cndmask_b32 v15, 0, v5, s4 :: v_dual_cndmask_b32 v12, 0, v76, s6
	v_cmp_class_f64_e64 s8, v[4:5], 0x204
	v_bfi_b32 v13, 0x7fffffff, v77, v13
	v_mov_b64_e32 v[42:43], 0x3f81111111122322
	s_delay_alu instid0(VALU_DEP_4) | instskip(NEXT) | instid1(VALU_DEP_3)
	v_bfi_b32 v14, 0x7fffffff, v14, v15
	v_cndmask_b32_e64 v15, 0x7ff80000, v13, s6
	v_cmp_gt_f64_e64 s6, 0, v[4:5]
	s_delay_alu instid0(VALU_DEP_4) | instskip(SKIP_4) | instid1(VALU_DEP_2)
	v_fmac_f64_e32 v[42:43], v[54:55], v[24:25]
	v_fmaak_f64 v[24:25], v[62:63], v[64:65], 0x3ec71dee623fde64
	s_and_b32 vcc_lo, s7, vcc_lo
	v_cndmask_b32_e32 v40, 0, v11, vcc_lo
	s_or_b32 s4, s5, s8
	v_fmaak_f64 v[24:25], v[62:63], v[24:25], 0x3efa01997c89e6b0
	v_dual_cndmask_b32 v13, v13, v15, s6 :: v_dual_cndmask_b32 v12, v76, v12, s6
	s_delay_alu instid0(VALU_DEP_2) | instskip(NEXT) | instid1(VALU_DEP_2)
	v_fmaak_f64 v[24:25], v[62:63], v[24:25], 0x3f2a01a014761f6e
	v_cndmask_b32_e64 v13, v13, v14, s4
	v_fmaak_f64 v[14:15], v[66:67], v[72:73], 0x3ec71dee623fde64
	s_delay_alu instid0(VALU_DEP_4) | instskip(NEXT) | instid1(VALU_DEP_4)
	v_cndmask_b32_e64 v12, v12, 0, s4
	v_fmaak_f64 v[24:25], v[62:63], v[24:25], 0x3f56c16c1852b7b0
	s_delay_alu instid0(VALU_DEP_2) | instskip(NEXT) | instid1(VALU_DEP_4)
	v_mul_f64_e32 v[46:47], 0x3de49da7e361ce4c, v[12:13]
	v_fmaak_f64 v[14:15], v[66:67], v[14:15], 0x3efa01997c89e6b0
	v_cndmask_b32_e64 v13, 0x7ff00000, 0, s11
	v_cvt_i32_f64_e32 v12, v[44:45]
	v_fmaak_f64 v[24:25], v[62:63], v[24:25], 0x3f81111111122322
	v_cmp_ngt_f64_e64 s11, 0xc090cc00, v[30:31]
	s_delay_alu instid0(VALU_DEP_4) | instskip(SKIP_1) | instid1(VALU_DEP_4)
	v_bfi_b32 v13, 0x7fffffff, v13, v40
	v_fmaak_f64 v[14:15], v[66:67], v[14:15], 0x3f2a01a014761f6e
	v_fmaak_f64 v[24:25], v[62:63], v[24:25], 0x3fa55555555502a1
	s_delay_alu instid0(VALU_DEP_2) | instskip(NEXT) | instid1(VALU_DEP_2)
	v_fmaak_f64 v[14:15], v[66:67], v[14:15], 0x3f56c16c1852b7b0
	v_fmaak_f64 v[24:25], v[62:63], v[24:25], 0x3fc5555555555511
	s_delay_alu instid0(VALU_DEP_2) | instskip(NEXT) | instid1(VALU_DEP_2)
	;; [unrolled: 3-line block ×3, first 2 shown]
	v_fmaak_f64 v[14:15], v[66:67], v[14:15], 0x3fa55555555502a1
	v_fma_f64 v[24:25], v[62:63], v[24:25], 1.0
	s_delay_alu instid0(VALU_DEP_2) | instskip(NEXT) | instid1(VALU_DEP_1)
	v_fmaak_f64 v[14:15], v[66:67], v[14:15], 0x3fc5555555555511
	v_fmaak_f64 v[14:15], v[66:67], v[14:15], 0x3fe000000000000b
	s_delay_alu instid0(VALU_DEP_1) | instskip(NEXT) | instid1(VALU_DEP_4)
	v_fma_f64 v[14:15], v[66:67], v[14:15], 1.0
	v_fma_f64 v[24:25], v[62:63], v[24:25], 1.0
	v_mov_b64_e32 v[62:63], 0x3fc5555555555511
	s_delay_alu instid0(VALU_DEP_3) | instskip(SKIP_1) | instid1(VALU_DEP_1)
	v_fma_f64 v[14:15], v[66:67], v[14:15], 1.0
	v_mov_b64_e32 v[66:67], 0x3fa55555555502a1
	v_fmac_f64_e32 v[66:67], v[54:55], v[42:43]
	v_fmaak_f64 v[42:43], v[56:57], v[60:61], 0x3ec71dee623fde64
	v_ldexp_f64 v[24:25], v[24:25], v48
	s_delay_alu instid0(VALU_DEP_2) | instskip(NEXT) | instid1(VALU_DEP_1)
	v_fmaak_f64 v[42:43], v[56:57], v[42:43], 0x3efa01997c89e6b0
	v_fmaak_f64 v[42:43], v[56:57], v[42:43], 0x3f2a01a014761f6e
	s_delay_alu instid0(VALU_DEP_1) | instskip(SKIP_1) | instid1(VALU_DEP_2)
	v_fmaak_f64 v[42:43], v[56:57], v[42:43], 0x3f56c16c1852b7b0
	v_ldexp_f64 v[14:15], v[14:15], v50
	v_fmaak_f64 v[42:43], v[56:57], v[42:43], 0x3f81111111122322
	v_fmac_f64_e32 v[62:63], v[54:55], v[66:67]
	s_delay_alu instid0(VALU_DEP_2) | instskip(NEXT) | instid1(VALU_DEP_1)
	v_fmaak_f64 v[42:43], v[56:57], v[42:43], 0x3fa55555555502a1
	v_fmaak_f64 v[42:43], v[56:57], v[42:43], 0x3fc5555555555511
	s_delay_alu instid0(VALU_DEP_1) | instskip(NEXT) | instid1(VALU_DEP_1)
	v_fmaak_f64 v[42:43], v[56:57], v[42:43], 0x3fe000000000000b
	v_fma_f64 v[42:43], v[56:57], v[42:43], 1.0
	s_delay_alu instid0(VALU_DEP_1) | instskip(SKIP_1) | instid1(VALU_DEP_1)
	v_fma_f64 v[42:43], v[56:57], v[42:43], 1.0
	v_mov_b64_e32 v[56:57], 0x3fe000000000000b
	v_fmac_f64_e32 v[56:57], v[54:55], v[62:63]
	s_delay_alu instid0(VALU_DEP_3) | instskip(NEXT) | instid1(VALU_DEP_2)
	v_ldexp_f64 v[42:43], v[42:43], v51
	v_fma_f64 v[56:57], v[54:55], v[56:57], 1.0
	s_delay_alu instid0(VALU_DEP_1)
	v_fma_f64 v[54:55], v[54:55], v[56:57], 1.0
	v_cndmask_b32_e32 v56, 0x3ff00000, v11, vcc_lo
	v_cndmask_b32_e64 v57, 0, v69, s7
	s_and_b32 vcc_lo, s9, s3
	s_xor_b32 s3, s5, s10
	v_cndmask_b32_e32 v41, 0x3ff00000, v5, vcc_lo
	v_bfi_b32 v56, 0x7fffffff, v71, v56
	v_cndmask_b32_e64 v40, v69, v57, s13
	v_cndmask_b32_e64 v45, 0x7ff00000, 0, s3
	v_cmp_nlt_f64_e64 s10, 0x40900000, v[30:31]
	v_bfi_b32 v50, 0x7fffffff, v70, v41
	v_cndmask_b32_e64 v49, 0x7ff80000, v56, s7
	v_cmp_u_f64_e64 s7, v[4:5], v[4:5]
	v_mul_f64_e32 v[30:31], 0x3dba2b1abcf44c2d, v[2:3]
	s_delay_alu instid0(VALU_DEP_3)
	v_cndmask_b32_e64 v44, v56, v49, s13
	v_cndmask_b32_e32 v49, 0, v5, vcc_lo
	s_or_b32 vcc_lo, s12, s14
	v_cmp_nlt_f64_e64 s13, 0x40900000, v[28:29]
	v_cndmask_b32_e64 v56, v40, 0, vcc_lo
	v_cndmask_b32_e32 v13, v44, v13, vcc_lo
	v_cmp_o_f64_e32 vcc_lo, v[10:11], v[10:11]
	v_cndmask_b32_e64 v10, 0x7ff80000, v50, s9
	v_cndmask_b32_e64 v44, 0, v1, s9
	v_bfi_b32 v11, 0x7fffffff, v45, v49
	v_mul_f64_e32 v[40:41], 0x3dd716f9798c4336, v[8:9]
	v_cmp_ngt_f64_e64 s9, 0xc090cc00, v[38:39]
	s_delay_alu instid0(VALU_DEP_4) | instskip(SKIP_3) | instid1(VALU_DEP_4)
	v_dual_cndmask_b32 v10, v50, v10, s6 :: v_dual_cndmask_b32 v1, v1, v44, s6
	v_ldexp_f64 v[44:45], v[52:53], v12
	v_cmp_ngt_f64_e64 s14, 0xc090cc00, v[28:29]
	v_ldexp_f64 v[48:49], v[54:55], v58
	v_cndmask_b32_e64 v11, v10, v11, s4
	v_cmp_nlt_f64_e64 s12, 0x40900000, v[26:27]
	v_mul_f64_e32 v[8:9], 0x3df716f9798c4336, v[8:9]
	v_mul_f64_e32 v[28:29], 0x3dd014925013f7f4, v[2:3]
	v_mov_b64_e32 v[52:53], 1.0
	s_or_b32 s3, s7, s4
	v_cndmask_b32_e64 v11, v11, 0x7ff80000, s7
	v_cndmask_b32_e64 v10, v1, 0, s3
	v_cmp_nlt_f64_e64 s3, 0x40900000, v[38:39]
	s_delay_alu instid0(VALU_DEP_4)
	v_fmamk_f64 v[52:53], v[24:25], 0x3fd3333333333333, v[52:53]
	v_cndmask_b32_e64 v24, 0x7ff00000, v43, s10
	v_cndmask_b32_e64 v51, v47, 0x7ff80000, s7
	v_mul_f64_e32 v[38:39], 0x3f5f212d77318fc5, v[10:11]
	v_cndmask_b32_e64 v50, v46, 0, s7
	v_cndmask_b32_e32 v12, 0, v56, vcc_lo
	v_cndmask_b32_e32 v13, 0x7ff80000, v13, vcc_lo
	v_cmp_o_f64_e32 vcc_lo, v[6:7], v[6:7]
	v_cndmask_b32_e64 v27, 0, v24, s11
	s_delay_alu instid0(VALU_DEP_3) | instskip(SKIP_3) | instid1(VALU_DEP_3)
	v_mul_f64_e32 v[22:23], v[40:41], v[12:13]
	v_cndmask_b32_e64 v25, 0x7ff00000, v45, s13
	v_cndmask_b32_e64 v43, 0x7ff00000, v49, s15
	v_mul_f64_e32 v[54:55], v[8:9], v[12:13]
	v_cndmask_b32_e64 v25, 0, v25, s14
	v_cndmask_b32_e64 v1, 0x7ff00000, v15, s3
	s_and_b32 s3, s9, s3
	s_delay_alu instid0(VALU_DEP_1) | instid1(SALU_CYCLE_1)
	v_dual_cndmask_b32 v6, 0, v14, s3 :: v_dual_cndmask_b32 v7, 0, v1, s9
	v_cndmask_b32_e64 v1, 0x7ff00000, v53, s12
	v_cndmask_b32_e32 v15, 0x7ff80000, v21, vcc_lo
	s_delay_alu instid0(VALU_DEP_3) | instskip(SKIP_1) | instid1(VALU_DEP_3)
	v_dual_mul_f64 v[40:41], v[6:7], v[38:39] :: v_dual_cndmask_b32 v14, 0, v20, vcc_lo
	s_and_b32 vcc_lo, s11, s10
	v_cndmask_b32_e64 v9, 0x3ff00000, v1, s17
	v_cndmask_b32_e32 v26, 0, v42, vcc_lo
	s_and_b32 vcc_lo, s14, s13
	s_delay_alu instid0(SALU_CYCLE_1) | instskip(SKIP_1) | instid1(SALU_CYCLE_1)
	v_dual_mul_f64 v[38:39], v[22:23], v[14:15] :: v_dual_cndmask_b32 v24, 0, v44, vcc_lo
	s_and_b32 vcc_lo, s16, s15
	v_dual_cndmask_b32 v23, 0, v43, s16 :: v_dual_cndmask_b32 v22, 0, v48, vcc_lo
	s_and_b32 vcc_lo, s17, s12
	s_delay_alu instid0(SALU_CYCLE_1)
	v_dual_mul_f64 v[28:29], v[28:29], v[26:27] :: v_dual_cndmask_b32 v8, 0, v52, vcc_lo
	v_div_fixup_f64 v[20:21], v[34:35], v[32:33], 1.0
	v_mul_f64_e32 v[30:31], v[30:31], v[24:25]
	v_mul_f64_e32 v[32:33], v[36:37], v[22:23]
	;; [unrolled: 1-line block ×3, first 2 shown]
	s_cmp_lg_u32 s18, 0
	s_cselect_b32 s19, -1, 0
	s_cmp_eq_u32 s18, 0
	v_mul_f64_e32 v[34:35], v[8:9], v[40:41]
	v_mul_f64_e32 v[46:47], s[20:21], v[38:39]
	v_fmac_f64_e32 v[38:39], v[20:21], v[28:29]
	v_mul_f64_e32 v[44:45], v[20:21], v[30:31]
	v_mul_f64_e32 v[48:49], v[20:21], v[32:33]
	v_add_f64_e32 v[50:51], v[50:51], v[34:35]
	s_cbranch_scc1 .LBB0_8
; %bb.2:
	s_mov_b64 s[10:11], 0x3fb435e50d79435e
	v_mov_b64_e32 v[30:31], s[20:21]
	v_mul_f64_e64 v[40:41], s[20:21], s[10:11]
	v_mov_b32_e32 v1, 19
	s_mov_b64 s[10:11], 0x3d5681ec627a63c3
	s_mov_b64 s[12:13], 0x3d56070776710975
	;; [unrolled: 1-line block ×4, first 2 shown]
	s_mov_b32 s9, 0
.LBB0_3:                                ; =>This Inner Loop Header: Depth=1
	v_mov_b64_e32 v[52:53], v[30:31]
	v_sub_co_u32 v1, s18, v1, 1
	s_delay_alu instid0(VALU_DEP_2) | instskip(SKIP_2) | instid1(VALU_DEP_3)
	v_div_scale_f64 v[28:29], null, v[52:53], v[52:53], s[10:11]
	v_div_scale_f64 v[34:35], vcc_lo, s[10:11], v[52:53], s[10:11]
	v_div_scale_f64 v[58:59], s3, s[12:13], v[52:53], s[12:13]
	v_rcp_f64_e32 v[30:31], v[28:29]
	v_nop
	s_delay_alu instid0(TRANS32_DEP_1) | instskip(NEXT) | instid1(VALU_DEP_1)
	v_fma_f64 v[32:33], -v[28:29], v[30:31], 1.0
	v_fmac_f64_e32 v[30:31], v[30:31], v[32:33]
	s_delay_alu instid0(VALU_DEP_1) | instskip(NEXT) | instid1(VALU_DEP_1)
	v_fma_f64 v[32:33], -v[28:29], v[30:31], 1.0
	v_fmac_f64_e32 v[30:31], v[30:31], v[32:33]
	s_delay_alu instid0(VALU_DEP_1) | instskip(NEXT) | instid1(VALU_DEP_1)
	v_mul_f64_e32 v[32:33], v[34:35], v[30:31]
	v_fma_f64 v[28:29], -v[28:29], v[32:33], v[34:35]
	s_delay_alu instid0(VALU_DEP_1) | instskip(SKIP_1) | instid1(VALU_DEP_2)
	v_div_fmas_f64 v[28:29], v[28:29], v[30:31], v[32:33]
	v_div_scale_f64 v[32:33], null, v[52:53], v[52:53], s[12:13]
	v_div_fixup_f64 v[28:29], v[28:29], v[52:53], s[10:11]
	s_delay_alu instid0(VALU_DEP_2) | instskip(NEXT) | instid1(VALU_DEP_1)
	v_rcp_f64_e32 v[36:37], v[32:33]
	v_add_f64_e32 v[30:31], v[38:39], v[28:29]
	s_delay_alu instid0(TRANS32_DEP_1) | instskip(NEXT) | instid1(VALU_DEP_2)
	v_fma_f64 v[56:57], -v[32:33], v[36:37], 1.0
	v_div_scale_f64 v[28:29], null, v[30:31], v[30:31], v[46:47]
	v_div_scale_f64 v[60:61], vcc_lo, v[46:47], v[30:31], v[46:47]
	s_delay_alu instid0(VALU_DEP_3) | instskip(NEXT) | instid1(VALU_DEP_3)
	v_fmac_f64_e32 v[36:37], v[36:37], v[56:57]
	v_rcp_f64_e32 v[34:35], v[28:29]
	s_delay_alu instid0(VALU_DEP_1) | instskip(NEXT) | instid1(TRANS32_DEP_1)
	v_fma_f64 v[56:57], -v[32:33], v[36:37], 1.0
	v_fma_f64 v[54:55], -v[28:29], v[34:35], 1.0
	s_delay_alu instid0(VALU_DEP_2) | instskip(NEXT) | instid1(VALU_DEP_2)
	v_fmac_f64_e32 v[36:37], v[36:37], v[56:57]
	v_fmac_f64_e32 v[34:35], v[34:35], v[54:55]
	s_delay_alu instid0(VALU_DEP_2) | instskip(NEXT) | instid1(VALU_DEP_2)
	v_mul_f64_e32 v[56:57], v[58:59], v[36:37]
	v_fma_f64 v[54:55], -v[28:29], v[34:35], 1.0
	s_delay_alu instid0(VALU_DEP_2) | instskip(NEXT) | instid1(VALU_DEP_2)
	v_fma_f64 v[32:33], -v[32:33], v[56:57], v[58:59]
	v_fmac_f64_e32 v[34:35], v[34:35], v[54:55]
	s_delay_alu instid0(VALU_DEP_1) | instskip(NEXT) | instid1(VALU_DEP_1)
	v_mul_f64_e32 v[54:55], v[60:61], v[34:35]
	v_fma_f64 v[28:29], -v[28:29], v[54:55], v[60:61]
	s_delay_alu instid0(VALU_DEP_1) | instskip(SKIP_3) | instid1(VALU_DEP_2)
	v_div_fmas_f64 v[34:35], v[28:29], v[34:35], v[54:55]
	s_mov_b32 vcc_lo, s3
	v_div_fmas_f64 v[28:29], v[32:33], v[36:37], v[56:57]
	v_div_scale_f64 v[32:33], null, v[52:53], v[52:53], s[14:15]
	v_div_fixup_f64 v[28:29], v[28:29], v[52:53], s[12:13]
	s_delay_alu instid0(VALU_DEP_2) | instskip(NEXT) | instid1(VALU_DEP_1)
	v_rcp_f64_e32 v[56:57], v[32:33]
	v_add_f64_e32 v[54:55], v[44:45], v[28:29]
	s_delay_alu instid0(TRANS32_DEP_1) | instskip(NEXT) | instid1(VALU_DEP_2)
	v_fma_f64 v[60:61], -v[32:33], v[56:57], 1.0
	v_div_scale_f64 v[28:29], null, v[54:55], v[54:55], v[50:51]
	v_div_scale_f64 v[62:63], vcc_lo, v[50:51], v[54:55], v[50:51]
	s_delay_alu instid0(VALU_DEP_3) | instskip(NEXT) | instid1(VALU_DEP_3)
	v_fmac_f64_e32 v[56:57], v[56:57], v[60:61]
	v_rcp_f64_e32 v[36:37], v[28:29]
	s_delay_alu instid0(VALU_DEP_1) | instskip(NEXT) | instid1(TRANS32_DEP_1)
	v_fma_f64 v[60:61], -v[32:33], v[56:57], 1.0
	v_fma_f64 v[58:59], -v[28:29], v[36:37], 1.0
	s_delay_alu instid0(VALU_DEP_2) | instskip(NEXT) | instid1(VALU_DEP_2)
	v_fmac_f64_e32 v[56:57], v[56:57], v[60:61]
	v_fmac_f64_e32 v[36:37], v[36:37], v[58:59]
	s_delay_alu instid0(VALU_DEP_1) | instskip(NEXT) | instid1(VALU_DEP_1)
	v_fma_f64 v[58:59], -v[28:29], v[36:37], 1.0
	v_fmac_f64_e32 v[36:37], v[36:37], v[58:59]
	v_div_scale_f64 v[58:59], s3, s[14:15], v[52:53], s[14:15]
	s_delay_alu instid0(VALU_DEP_2) | instskip(NEXT) | instid1(VALU_DEP_2)
	v_mul_f64_e32 v[60:61], v[62:63], v[36:37]
	v_mul_f64_e32 v[64:65], v[58:59], v[56:57]
	s_delay_alu instid0(VALU_DEP_2) | instskip(NEXT) | instid1(VALU_DEP_2)
	v_fma_f64 v[28:29], -v[28:29], v[60:61], v[62:63]
	v_fma_f64 v[32:33], -v[32:33], v[64:65], v[58:59]
	s_delay_alu instid0(VALU_DEP_2) | instskip(SKIP_1) | instid1(VALU_DEP_2)
	v_div_fmas_f64 v[28:29], v[28:29], v[36:37], v[60:61]
	s_mov_b32 vcc_lo, s3
	v_div_fmas_f64 v[32:33], v[32:33], v[56:57], v[64:65]
	s_delay_alu instid0(VALU_DEP_2) | instskip(NEXT) | instid1(VALU_DEP_2)
	v_div_fixup_f64 v[28:29], v[28:29], v[54:55], v[50:51]
	v_div_fixup_f64 v[32:33], v[32:33], v[52:53], s[14:15]
	s_delay_alu instid0(VALU_DEP_2) | instskip(NEXT) | instid1(VALU_DEP_2)
	v_add_f64_e32 v[28:29], 1.0, v[28:29]
	v_add_f64_e32 v[32:33], v[48:49], v[32:33]
	s_delay_alu instid0(VALU_DEP_1) | instskip(SKIP_1) | instid1(VALU_DEP_2)
	v_div_scale_f64 v[36:37], null, v[42:43], v[42:43], v[32:33]
	v_div_scale_f64 v[60:61], vcc_lo, v[32:33], v[42:43], v[32:33]
	v_rcp_f64_e32 v[56:57], v[36:37]
	v_nop
	s_delay_alu instid0(TRANS32_DEP_1) | instskip(NEXT) | instid1(VALU_DEP_1)
	v_fma_f64 v[58:59], -v[36:37], v[56:57], 1.0
	v_fmac_f64_e32 v[56:57], v[56:57], v[58:59]
	s_delay_alu instid0(VALU_DEP_1) | instskip(NEXT) | instid1(VALU_DEP_1)
	v_fma_f64 v[58:59], -v[36:37], v[56:57], 1.0
	v_fmac_f64_e32 v[56:57], v[56:57], v[58:59]
	s_delay_alu instid0(VALU_DEP_1) | instskip(NEXT) | instid1(VALU_DEP_1)
	v_mul_f64_e32 v[58:59], v[60:61], v[56:57]
	v_fma_f64 v[36:37], -v[36:37], v[58:59], v[60:61]
	s_delay_alu instid0(VALU_DEP_1) | instskip(NEXT) | instid1(VALU_DEP_1)
	v_div_fmas_f64 v[36:37], v[36:37], v[56:57], v[58:59]
	v_div_fixup_f64 v[36:37], v[36:37], v[42:43], v[32:33]
	s_delay_alu instid0(VALU_DEP_1) | instskip(NEXT) | instid1(VALU_DEP_1)
	v_add_f64_e32 v[28:29], v[36:37], v[28:29]
	v_div_scale_f64 v[36:37], null, v[28:29], v[28:29], v[40:41]
	v_div_scale_f64 v[60:61], vcc_lo, v[40:41], v[28:29], v[40:41]
	s_delay_alu instid0(VALU_DEP_2) | instskip(SKIP_1) | instid1(TRANS32_DEP_1)
	v_rcp_f64_e32 v[56:57], v[36:37]
	v_nop
	v_fma_f64 v[58:59], -v[36:37], v[56:57], 1.0
	s_delay_alu instid0(VALU_DEP_1) | instskip(NEXT) | instid1(VALU_DEP_1)
	v_fmac_f64_e32 v[56:57], v[56:57], v[58:59]
	v_fma_f64 v[58:59], -v[36:37], v[56:57], 1.0
	s_delay_alu instid0(VALU_DEP_1) | instskip(NEXT) | instid1(VALU_DEP_1)
	v_fmac_f64_e32 v[56:57], v[56:57], v[58:59]
	v_mul_f64_e32 v[58:59], v[60:61], v[56:57]
	s_delay_alu instid0(VALU_DEP_1) | instskip(NEXT) | instid1(VALU_DEP_1)
	v_fma_f64 v[36:37], -v[36:37], v[58:59], v[60:61]
	v_div_fmas_f64 v[36:37], v[36:37], v[56:57], v[58:59]
	s_delay_alu instid0(VALU_DEP_1) | instskip(NEXT) | instid1(VALU_DEP_1)
	v_div_fixup_f64 v[28:29], v[36:37], v[28:29], v[40:41]
	v_mul_f64_e32 v[32:33], v[32:33], v[28:29]
	s_delay_alu instid0(VALU_DEP_1) | instskip(SKIP_1) | instid1(VALU_DEP_2)
	v_div_scale_f64 v[56:57], null, v[42:43], v[42:43], v[32:33]
	v_div_scale_f64 v[60:61], vcc_lo, v[32:33], v[42:43], v[32:33]
	v_rcp_f64_e32 v[58:59], v[56:57]
	v_nop
	s_delay_alu instid0(TRANS32_DEP_1) | instskip(NEXT) | instid1(VALU_DEP_1)
	v_fma_f64 v[36:37], -v[56:57], v[58:59], 1.0
	v_fmac_f64_e32 v[58:59], v[58:59], v[36:37]
	s_delay_alu instid0(VALU_DEP_1) | instskip(NEXT) | instid1(VALU_DEP_1)
	v_fma_f64 v[36:37], -v[56:57], v[58:59], 1.0
	v_fmac_f64_e32 v[58:59], v[58:59], v[36:37]
	v_div_fixup_f64 v[36:37], v[34:35], v[30:31], v[46:47]
	s_delay_alu instid0(VALU_DEP_2) | instskip(NEXT) | instid1(VALU_DEP_2)
	v_mul_f64_e32 v[62:63], v[60:61], v[58:59]
	v_add_f64_e64 v[34:35], s[20:21], -v[36:37]
	s_delay_alu instid0(VALU_DEP_2) | instskip(NEXT) | instid1(VALU_DEP_1)
	v_fma_f64 v[30:31], -v[56:57], v[62:63], v[60:61]
	v_div_fmas_f64 v[56:57], v[30:31], v[58:59], v[62:63]
	s_delay_alu instid0(VALU_DEP_3) | instskip(NEXT) | instid1(VALU_DEP_2)
	v_add_f64_e32 v[30:31], v[34:35], v[28:29]
	v_div_fixup_f64 v[32:33], v[56:57], v[42:43], v[32:33]
	s_delay_alu instid0(VALU_DEP_1) | instskip(NEXT) | instid1(VALU_DEP_1)
	v_fmac_f64_e32 v[30:31], 2.0, v[32:33]
	v_add_f64_e64 v[52:53], v[52:53], -v[30:31]
	s_delay_alu instid0(VALU_DEP_1) | instskip(SKIP_1) | instid1(SALU_CYCLE_1)
	v_cmp_lt_f64_e64 s3, |v[52:53]|, s[16:17]
	s_or_b32 s3, s3, s18
	s_and_b32 s3, exec_lo, s3
	s_delay_alu instid0(SALU_CYCLE_1) | instskip(NEXT) | instid1(SALU_CYCLE_1)
	s_or_b32 s9, s3, s9
	s_and_not1_b32 exec_lo, exec_lo, s9
	s_cbranch_execnz .LBB0_3
; %bb.4:
	s_or_b32 exec_lo, exec_lo, s9
	v_mul_f64_e32 v[40:41], v[50:51], v[28:29]
	s_delay_alu instid0(VALU_DEP_1) | instskip(NEXT) | instid1(VALU_DEP_1)
	v_div_scale_f64 v[52:53], null, v[54:55], v[54:55], v[40:41]
	v_rcp_f64_e32 v[56:57], v[52:53]
	v_nop
	s_delay_alu instid0(TRANS32_DEP_1) | instskip(NEXT) | instid1(VALU_DEP_1)
	v_fma_f64 v[58:59], -v[52:53], v[56:57], 1.0
	v_fmac_f64_e32 v[56:57], v[56:57], v[58:59]
	s_delay_alu instid0(VALU_DEP_1) | instskip(NEXT) | instid1(VALU_DEP_1)
	v_fma_f64 v[58:59], -v[52:53], v[56:57], 1.0
	v_fmac_f64_e32 v[56:57], v[56:57], v[58:59]
	v_div_scale_f64 v[58:59], vcc_lo, v[40:41], v[54:55], v[40:41]
	s_delay_alu instid0(VALU_DEP_1) | instskip(NEXT) | instid1(VALU_DEP_1)
	v_mul_f64_e32 v[60:61], v[58:59], v[56:57]
	v_fma_f64 v[52:53], -v[52:53], v[60:61], v[58:59]
	s_delay_alu instid0(VALU_DEP_1) | instskip(NEXT) | instid1(VALU_DEP_1)
	v_div_fmas_f64 v[52:53], v[52:53], v[56:57], v[60:61]
	v_div_fixup_f64 v[40:41], v[52:53], v[54:55], v[40:41]
	v_ashrrev_i32_e32 v1, 31, v0
	s_branch .LBB0_6
.LBB0_5:
	v_div_scale_f64 v[28:29], null, v[38:39], v[38:39], v[46:47]
	s_delay_alu instid0(VALU_DEP_3)
	v_div_scale_f64 v[30:31], null, v[44:45], v[44:45], v[50:51]
	v_div_scale_f64 v[32:33], null, v[42:43], v[42:43], v[48:49]
	v_div_scale_f64 v[58:59], vcc_lo, v[46:47], v[38:39], v[46:47]
	s_mov_b64 s[10:11], 0x3fb435e50d79435e
	v_rcp_f64_e32 v[34:35], v[28:29]
	v_rcp_f64_e32 v[36:37], v[30:31]
	;; [unrolled: 1-line block ×3, first 2 shown]
	s_delay_alu instid0(TRANS32_DEP_3) | instskip(NEXT) | instid1(TRANS32_DEP_2)
	v_fma_f64 v[52:53], -v[28:29], v[34:35], 1.0
	v_fma_f64 v[54:55], -v[30:31], v[36:37], 1.0
	s_delay_alu instid0(TRANS32_DEP_1) | instskip(NEXT) | instid1(VALU_DEP_3)
	v_fma_f64 v[56:57], -v[32:33], v[40:41], 1.0
	v_fmac_f64_e32 v[34:35], v[34:35], v[52:53]
	s_delay_alu instid0(VALU_DEP_3) | instskip(NEXT) | instid1(VALU_DEP_3)
	v_fmac_f64_e32 v[36:37], v[36:37], v[54:55]
	v_fmac_f64_e32 v[40:41], v[40:41], v[56:57]
	s_delay_alu instid0(VALU_DEP_3) | instskip(NEXT) | instid1(VALU_DEP_3)
	v_fma_f64 v[52:53], -v[28:29], v[34:35], 1.0
	v_fma_f64 v[54:55], -v[30:31], v[36:37], 1.0
	s_delay_alu instid0(VALU_DEP_3) | instskip(NEXT) | instid1(VALU_DEP_3)
	v_fma_f64 v[56:57], -v[32:33], v[40:41], 1.0
	v_fmac_f64_e32 v[34:35], v[34:35], v[52:53]
	v_div_scale_f64 v[52:53], s3, v[50:51], v[44:45], v[50:51]
	s_delay_alu instid0(VALU_DEP_4) | instskip(NEXT) | instid1(VALU_DEP_4)
	v_fmac_f64_e32 v[36:37], v[36:37], v[54:55]
	v_fmac_f64_e32 v[40:41], v[40:41], v[56:57]
	v_div_scale_f64 v[54:55], s9, v[48:49], v[42:43], v[48:49]
	v_mul_f64_e32 v[56:57], v[58:59], v[34:35]
	s_delay_alu instid0(VALU_DEP_4) | instskip(NEXT) | instid1(VALU_DEP_3)
	v_mul_f64_e32 v[60:61], v[52:53], v[36:37]
	v_mul_f64_e32 v[62:63], v[54:55], v[40:41]
	s_delay_alu instid0(VALU_DEP_3) | instskip(NEXT) | instid1(VALU_DEP_3)
	v_fma_f64 v[28:29], -v[28:29], v[56:57], v[58:59]
	v_fma_f64 v[30:31], -v[30:31], v[60:61], v[52:53]
	s_delay_alu instid0(VALU_DEP_3) | instskip(NEXT) | instid1(VALU_DEP_3)
	v_fma_f64 v[32:33], -v[32:33], v[62:63], v[54:55]
	v_div_fmas_f64 v[34:35], v[28:29], v[34:35], v[56:57]
	s_mov_b32 vcc_lo, s3
	s_delay_alu instid0(VALU_DEP_3) | instskip(SKIP_1) | instid1(VALU_DEP_3)
	v_div_fmas_f64 v[28:29], v[30:31], v[36:37], v[60:61]
	s_mov_b32 vcc_lo, s9
	v_div_fmas_f64 v[30:31], v[32:33], v[40:41], v[62:63]
	v_mul_f64_e64 v[32:33], s[20:21], s[10:11]
	s_delay_alu instid0(VALU_DEP_3) | instskip(NEXT) | instid1(VALU_DEP_3)
	v_div_fixup_f64 v[28:29], v[28:29], v[44:45], v[50:51]
	v_div_fixup_f64 v[30:31], v[30:31], v[42:43], v[48:49]
	s_delay_alu instid0(VALU_DEP_2) | instskip(NEXT) | instid1(VALU_DEP_1)
	v_add_f64_e32 v[28:29], 1.0, v[28:29]
	v_add_f64_e32 v[28:29], v[30:31], v[28:29]
	s_delay_alu instid0(VALU_DEP_1) | instskip(SKIP_1) | instid1(VALU_DEP_2)
	v_div_scale_f64 v[30:31], null, v[28:29], v[28:29], v[32:33]
	v_div_scale_f64 v[52:53], vcc_lo, v[32:33], v[28:29], v[32:33]
	v_rcp_f64_e32 v[36:37], v[30:31]
	v_nop
	s_delay_alu instid0(TRANS32_DEP_1) | instskip(NEXT) | instid1(VALU_DEP_1)
	v_fma_f64 v[40:41], -v[30:31], v[36:37], 1.0
	v_fmac_f64_e32 v[36:37], v[36:37], v[40:41]
	s_delay_alu instid0(VALU_DEP_1) | instskip(NEXT) | instid1(VALU_DEP_1)
	v_fma_f64 v[40:41], -v[30:31], v[36:37], 1.0
	v_fmac_f64_e32 v[36:37], v[36:37], v[40:41]
	s_delay_alu instid0(VALU_DEP_1) | instskip(NEXT) | instid1(VALU_DEP_1)
	v_mul_f64_e32 v[40:41], v[52:53], v[36:37]
	v_fma_f64 v[30:31], -v[30:31], v[40:41], v[52:53]
	s_delay_alu instid0(VALU_DEP_1) | instskip(NEXT) | instid1(VALU_DEP_1)
	v_div_fmas_f64 v[30:31], v[30:31], v[36:37], v[40:41]
	v_div_fixup_f64 v[28:29], v[30:31], v[28:29], v[32:33]
	s_delay_alu instid0(VALU_DEP_1) | instskip(SKIP_1) | instid1(VALU_DEP_2)
	v_mul_f64_e32 v[40:41], v[50:51], v[28:29]
	v_mul_f64_e32 v[30:31], v[48:49], v[28:29]
	v_div_scale_f64 v[32:33], null, v[44:45], v[44:45], v[40:41]
	s_delay_alu instid0(VALU_DEP_2) | instskip(SKIP_1) | instid1(VALU_DEP_3)
	v_div_scale_f64 v[36:37], null, v[42:43], v[42:43], v[30:31]
	v_div_scale_f64 v[56:57], vcc_lo, v[40:41], v[44:45], v[40:41]
	v_rcp_f64_e32 v[48:49], v[32:33]
	s_delay_alu instid0(VALU_DEP_2) | instskip(NEXT) | instid1(TRANS32_DEP_2)
	v_rcp_f64_e32 v[50:51], v[36:37]
	v_fma_f64 v[52:53], -v[32:33], v[48:49], 1.0
	s_delay_alu instid0(TRANS32_DEP_1) | instskip(NEXT) | instid1(VALU_DEP_2)
	v_fma_f64 v[54:55], -v[36:37], v[50:51], 1.0
	v_fmac_f64_e32 v[48:49], v[48:49], v[52:53]
	s_delay_alu instid0(VALU_DEP_2) | instskip(NEXT) | instid1(VALU_DEP_2)
	v_fmac_f64_e32 v[50:51], v[50:51], v[54:55]
	v_fma_f64 v[52:53], -v[32:33], v[48:49], 1.0
	s_delay_alu instid0(VALU_DEP_2) | instskip(NEXT) | instid1(VALU_DEP_2)
	v_fma_f64 v[54:55], -v[36:37], v[50:51], 1.0
	v_fmac_f64_e32 v[48:49], v[48:49], v[52:53]
	v_div_scale_f64 v[52:53], s3, v[30:31], v[42:43], v[30:31]
	s_delay_alu instid0(VALU_DEP_3) | instskip(NEXT) | instid1(VALU_DEP_3)
	v_fmac_f64_e32 v[50:51], v[50:51], v[54:55]
	v_mul_f64_e32 v[54:55], v[56:57], v[48:49]
	s_delay_alu instid0(VALU_DEP_2) | instskip(NEXT) | instid1(VALU_DEP_2)
	v_mul_f64_e32 v[58:59], v[52:53], v[50:51]
	v_fma_f64 v[32:33], -v[32:33], v[54:55], v[56:57]
	s_delay_alu instid0(VALU_DEP_2) | instskip(SKIP_1) | instid1(VALU_DEP_3)
	v_fma_f64 v[52:53], -v[36:37], v[58:59], v[52:53]
	v_div_fixup_f64 v[36:37], v[34:35], v[38:39], v[46:47]
	v_div_fmas_f64 v[38:39], v[32:33], v[48:49], v[54:55]
	s_mov_b32 vcc_lo, s3
	s_delay_alu instid0(VALU_DEP_3) | instskip(NEXT) | instid1(VALU_DEP_3)
	v_div_fmas_f64 v[32:33], v[52:53], v[50:51], v[58:59]
	v_add_f64_e64 v[34:35], s[20:21], -v[36:37]
	s_delay_alu instid0(VALU_DEP_3) | instskip(NEXT) | instid1(VALU_DEP_3)
	v_div_fixup_f64 v[40:41], v[38:39], v[44:45], v[40:41]
	v_div_fixup_f64 v[32:33], v[32:33], v[42:43], v[30:31]
	s_delay_alu instid0(VALU_DEP_3) | instskip(NEXT) | instid1(VALU_DEP_1)
	v_add_f64_e32 v[30:31], v[34:35], v[28:29]
	v_fmac_f64_e32 v[30:31], 2.0, v[32:33]
.LBB0_6:
	s_load_b64 s[10:11], s[0:1], 0x18
	s_and_not1_b32 vcc_lo, exec_lo, s19
	s_cbranch_vccnz .LBB0_9
; %bb.7:
	v_mul_f64_e32 v[38:39], 0x3b07fb3136d36238, v[36:37]
	s_delay_alu instid0(VALU_DEP_1) | instskip(NEXT) | instid1(VALU_DEP_1)
	v_fmamk_f64 v[38:39], v[40:41], 0x3b20972b03029af8, v[38:39]
	v_fmamk_f64 v[38:39], v[28:29], 0x3ae80eaeafda58c5, v[38:39]
	s_branch .LBB0_10
.LBB0_8:
                                        ; implicit-def: $vgpr36_vgpr37
                                        ; implicit-def: $vgpr34_vgpr35
                                        ; implicit-def: $vgpr40_vgpr41
                                        ; implicit-def: $vgpr28_vgpr29
                                        ; implicit-def: $vgpr32_vgpr33
                                        ; implicit-def: $vgpr30_vgpr31
	v_ashrrev_i32_e32 v1, 31, v0
	s_cbranch_execnz .LBB0_5
	s_branch .LBB0_6
.LBB0_9:
	v_mov_b64_e32 v[38:39], 0
.LBB0_10:
	v_frexp_mant_f64_e32 v[42:43], v[4:5]
	s_wait_xcnt 0x0
	s_mov_b64 s[0:1], 0x3fe5555555555555
	v_div_scale_f64 v[66:67], null, v[4:5], v[4:5], 0xc0fce4c0
	v_mov_b64_e32 v[86:87], 0x3e928af3fca7ab0c
	v_mov_b64_e32 v[94:95], 0x3ec71dee623fde64
	v_mul_f64_e32 v[10:11], 0x3d41739221f01b65, v[10:11]
	s_wait_kmcnt 0x0
	v_lshl_add_u64 v[0:1], v[0:1], 3, s[10:11]
	v_cmp_gt_f64_e32 vcc_lo, s[0:1], v[42:43]
	s_mov_b64 s[0:1], 0x3fc3ab76bf559e2b
	s_delay_alu instid0(VALU_DEP_3) | instskip(SKIP_1) | instid1(VALU_DEP_1)
	v_mul_f64_e32 v[6:7], v[6:7], v[10:11]
	v_cndmask_b32_e64 v44, 0, 1, vcc_lo
	v_ldexp_f64 v[42:43], v[42:43], v44
	s_delay_alu instid0(VALU_DEP_3) | instskip(NEXT) | instid1(VALU_DEP_2)
	v_mul_f64_e32 v[6:7], v[8:9], v[6:7]
	v_add_f64_e32 v[44:45], 1.0, v[42:43]
	v_add_f64_e32 v[50:51], -1.0, v[42:43]
	s_delay_alu instid0(VALU_DEP_3) | instskip(NEXT) | instid1(VALU_DEP_3)
	v_mul_f64_e32 v[6:7], v[6:7], v[30:31]
	v_rcp_f64_e32 v[46:47], v[44:45]
	v_add_f64_e32 v[52:53], -1.0, v[44:45]
	s_delay_alu instid0(VALU_DEP_1) | instskip(NEXT) | instid1(TRANS32_DEP_1)
	v_add_f64_e64 v[42:43], v[42:43], -v[52:53]
	v_fma_f64 v[48:49], -v[44:45], v[46:47], 1.0
	s_delay_alu instid0(VALU_DEP_1) | instskip(NEXT) | instid1(VALU_DEP_1)
	v_fmac_f64_e32 v[46:47], v[48:49], v[46:47]
	v_fma_f64 v[48:49], -v[44:45], v[46:47], 1.0
	s_delay_alu instid0(VALU_DEP_1) | instskip(NEXT) | instid1(VALU_DEP_1)
	v_fmac_f64_e32 v[46:47], v[48:49], v[46:47]
	v_mul_f64_e32 v[48:49], v[50:51], v[46:47]
	s_delay_alu instid0(VALU_DEP_1) | instskip(NEXT) | instid1(VALU_DEP_1)
	v_mul_f64_e32 v[54:55], v[44:45], v[48:49]
	v_fma_f64 v[44:45], v[48:49], v[44:45], -v[54:55]
	s_delay_alu instid0(VALU_DEP_1) | instskip(NEXT) | instid1(VALU_DEP_1)
	v_fmac_f64_e32 v[44:45], v[48:49], v[42:43]
	v_add_f64_e32 v[42:43], v[54:55], v[44:45]
	s_delay_alu instid0(VALU_DEP_1) | instskip(SKIP_1) | instid1(VALU_DEP_2)
	v_add_f64_e64 v[52:53], v[50:51], -v[42:43]
	v_add_f64_e64 v[54:55], v[42:43], -v[54:55]
	;; [unrolled: 1-line block ×3, first 2 shown]
	s_delay_alu instid0(VALU_DEP_2) | instskip(NEXT) | instid1(VALU_DEP_2)
	v_add_f64_e64 v[44:45], v[54:55], -v[44:45]
	v_add_f64_e64 v[42:43], v[50:51], -v[42:43]
	s_delay_alu instid0(VALU_DEP_1) | instskip(NEXT) | instid1(VALU_DEP_1)
	v_add_f64_e32 v[42:43], v[44:45], v[42:43]
	v_add_f64_e32 v[42:43], v[52:53], v[42:43]
	s_delay_alu instid0(VALU_DEP_1) | instskip(NEXT) | instid1(VALU_DEP_1)
	v_mul_f64_e32 v[42:43], v[46:47], v[42:43]
	v_add_f64_e32 v[44:45], v[48:49], v[42:43]
	s_delay_alu instid0(VALU_DEP_1) | instskip(NEXT) | instid1(VALU_DEP_1)
	v_mul_f64_e32 v[46:47], v[44:45], v[44:45]
	v_fmaak_f64 v[50:51], s[0:1], v[46:47], 0x3fc385386b47b09a
	v_mul_f64_e32 v[52:53], v[44:45], v[46:47]
	s_mov_b64 s[0:1], 0x3fe62e42fefa39ef
	s_delay_alu instid0(VALU_DEP_2) | instskip(NEXT) | instid1(VALU_DEP_1)
	v_fmaak_f64 v[50:51], v[46:47], v[50:51], 0x3fc7474dd7f4df2e
	v_fmaak_f64 v[50:51], v[46:47], v[50:51], 0x3fcc71c016291751
	s_delay_alu instid0(VALU_DEP_1) | instskip(NEXT) | instid1(VALU_DEP_1)
	v_fmaak_f64 v[50:51], v[46:47], v[50:51], 0x3fd249249b27acf1
	v_fmaak_f64 v[50:51], v[46:47], v[50:51], 0x3fd99999998ef7b6
	s_delay_alu instid0(VALU_DEP_1) | instskip(SKIP_2) | instid1(VALU_DEP_3)
	v_fmaak_f64 v[46:47], v[46:47], v[50:51], 0x3fe5555555555780
	v_ldexp_f64 v[50:51], v[44:45], 1
	v_add_f64_e64 v[44:45], v[44:45], -v[48:49]
	v_mul_f64_e32 v[46:47], v[52:53], v[46:47]
	v_subrev_co_ci_u32_e64 v52, null, 0, v68, vcc_lo
	s_delay_alu instid0(VALU_DEP_1) | instskip(NEXT) | instid1(VALU_DEP_4)
	v_cvt_f64_i32_e32 v[52:53], v52
	v_add_f64_e64 v[42:43], v[42:43], -v[44:45]
	s_delay_alu instid0(VALU_DEP_4) | instskip(NEXT) | instid1(VALU_DEP_2)
	v_add_f64_e32 v[48:49], v[50:51], v[46:47]
	v_ldexp_f64 v[42:43], v[42:43], 1
	s_delay_alu instid0(VALU_DEP_2) | instskip(SKIP_1) | instid1(VALU_DEP_2)
	v_add_f64_e64 v[44:45], v[48:49], -v[50:51]
	v_mul_f64_e32 v[50:51], 0x3fe62e42fefa39ef, v[52:53]
	v_add_f64_e64 v[44:45], v[46:47], -v[44:45]
	s_delay_alu instid0(VALU_DEP_2) | instskip(SKIP_2) | instid1(VALU_DEP_3)
	v_fma_f64 v[46:47], v[52:53], s[0:1], -v[50:51]
	s_or_b32 s0, s5, s6
	v_div_scale_f64 v[72:73], s1, 0xc0fce4c0, v[4:5], 0xc0fce4c0
	v_add_f64_e32 v[42:43], v[42:43], v[44:45]
	s_delay_alu instid0(VALU_DEP_3) | instskip(NEXT) | instid1(VALU_DEP_1)
	v_fmamk_f64 v[44:45], v[52:53], 0x3c7abc9e3b39803f, v[46:47]
	v_add_f64_e32 v[46:47], v[50:51], v[44:45]
	s_delay_alu instid0(VALU_DEP_3) | instskip(NEXT) | instid1(VALU_DEP_2)
	v_add_f64_e32 v[52:53], v[48:49], v[42:43]
	v_add_f64_e64 v[50:51], v[46:47], -v[50:51]
	s_delay_alu instid0(VALU_DEP_2) | instskip(SKIP_1) | instid1(VALU_DEP_3)
	v_add_f64_e32 v[54:55], v[46:47], v[52:53]
	v_add_f64_e64 v[48:49], v[52:53], -v[48:49]
	v_add_f64_e64 v[44:45], v[44:45], -v[50:51]
	s_delay_alu instid0(VALU_DEP_3) | instskip(NEXT) | instid1(VALU_DEP_3)
	v_add_f64_e64 v[56:57], v[54:55], -v[46:47]
	v_add_f64_e64 v[42:43], v[42:43], -v[48:49]
	s_delay_alu instid0(VALU_DEP_2) | instskip(SKIP_1) | instid1(VALU_DEP_3)
	v_add_f64_e64 v[58:59], v[54:55], -v[56:57]
	v_add_f64_e64 v[48:49], v[52:53], -v[56:57]
	v_add_f64_e32 v[50:51], v[44:45], v[42:43]
	v_rcp_f64_e32 v[56:57], v[66:67]
	s_delay_alu instid0(VALU_DEP_3) | instskip(NEXT) | instid1(VALU_DEP_1)
	v_add_f64_e64 v[46:47], v[46:47], -v[58:59]
	v_add_f64_e32 v[46:47], v[48:49], v[46:47]
	s_delay_alu instid0(VALU_DEP_3) | instskip(NEXT) | instid1(VALU_DEP_2)
	v_add_f64_e64 v[48:49], v[50:51], -v[44:45]
	v_add_f64_e32 v[46:47], v[50:51], v[46:47]
	s_delay_alu instid0(VALU_DEP_2) | instskip(SKIP_1) | instid1(VALU_DEP_3)
	v_add_f64_e64 v[50:51], v[50:51], -v[48:49]
	v_add_f64_e64 v[42:43], v[42:43], -v[48:49]
	v_add_f64_e32 v[52:53], v[54:55], v[46:47]
	s_delay_alu instid0(VALU_DEP_3) | instskip(NEXT) | instid1(VALU_DEP_2)
	v_add_f64_e64 v[44:45], v[44:45], -v[50:51]
	v_add_f64_e64 v[48:49], v[52:53], -v[54:55]
	s_delay_alu instid0(VALU_DEP_2) | instskip(SKIP_1) | instid1(VALU_DEP_3)
	v_add_f64_e32 v[42:43], v[42:43], v[44:45]
	v_cndmask_b32_e64 v54, 0xb020c49c, 0, s2
	v_add_f64_e64 v[44:45], v[46:47], -v[48:49]
	s_delay_alu instid0(TRANS32_DEP_1) | instskip(NEXT) | instid1(VALU_DEP_2)
	v_fma_f64 v[48:49], -v[66:67], v[56:57], 1.0
	v_add_f64_e32 v[42:43], v[42:43], v[44:45]
	s_delay_alu instid0(VALU_DEP_2) | instskip(NEXT) | instid1(VALU_DEP_2)
	v_fmac_f64_e32 v[56:57], v[56:57], v[48:49]
	v_add_f64_e32 v[42:43], v[52:53], v[42:43]
	v_div_scale_f64 v[52:53], null, v[4:5], v[4:5], 0xc11ce898
	s_delay_alu instid0(VALU_DEP_3) | instskip(NEXT) | instid1(VALU_DEP_3)
	v_fma_f64 v[48:49], -v[66:67], v[56:57], 1.0
	v_dual_cndmask_b32 v43, v43, v5, s8 :: v_dual_cndmask_b32 v42, v42, v4, s8
	s_delay_alu instid0(VALU_DEP_3) | instskip(NEXT) | instid1(VALU_DEP_2)
	v_rcp_f64_e32 v[60:61], v[52:53]
	v_fmac_f64_e32 v[56:57], v[56:57], v[48:49]
	s_delay_alu instid0(VALU_DEP_2) | instskip(NEXT) | instid1(VALU_DEP_2)
	v_add_f64_e64 v[42:43], 0x40160000, -v[42:43]
	v_mul_f64_e32 v[78:79], v[72:73], v[56:57]
	s_delay_alu instid0(VALU_DEP_2) | instskip(NEXT) | instid1(VALU_DEP_3)
	v_cndmask_b32_e64 v43, v43, 0x7ff80000, s6
	v_cndmask_b32_e64 v42, v42, 0, s0
	s_delay_alu instid0(TRANS32_DEP_1) | instskip(SKIP_1) | instid1(VALU_DEP_4)
	v_fma_f64 v[46:47], -v[52:53], v[60:61], 1.0
	v_div_scale_f64 v[70:71], s0, 0xc11ce898, v[4:5], 0xc11ce898
	v_cndmask_b32_e64 v43, v43, 0x7ff00000, s5
	s_delay_alu instid0(VALU_DEP_1) | instskip(NEXT) | instid1(VALU_DEP_4)
	v_mul_f64_e32 v[44:45], v[42:43], v[42:43]
	v_fmac_f64_e32 v[60:61], v[60:61], v[46:47]
	s_delay_alu instid0(VALU_DEP_2) | instskip(SKIP_1) | instid1(VALU_DEP_3)
	v_div_scale_f64 v[50:51], null, 0xc0080000, 0xc0080000, v[44:45]
	v_div_scale_f64 v[68:69], vcc_lo, v[44:45], 0xc0080000, v[44:45]
	v_fma_f64 v[46:47], -v[52:53], v[60:61], 1.0
	s_delay_alu instid0(VALU_DEP_3) | instskip(NEXT) | instid1(VALU_DEP_1)
	v_rcp_f64_e32 v[62:63], v[50:51]
	v_fmac_f64_e32 v[60:61], v[60:61], v[46:47]
	s_delay_alu instid0(TRANS32_DEP_1) | instskip(NEXT) | instid1(VALU_DEP_2)
	v_fma_f64 v[42:43], -v[50:51], v[62:63], 1.0
	v_mul_f64_e32 v[76:77], v[70:71], v[60:61]
	s_delay_alu instid0(VALU_DEP_2) | instskip(NEXT) | instid1(VALU_DEP_1)
	v_fmac_f64_e32 v[62:63], v[62:63], v[42:43]
	v_fma_f64 v[42:43], -v[50:51], v[62:63], 1.0
	s_delay_alu instid0(VALU_DEP_1) | instskip(SKIP_2) | instid1(VALU_DEP_2)
	v_fmac_f64_e32 v[62:63], v[62:63], v[42:43]
	v_mov_b32_e32 v43, 0x3ff00000
	v_cndmask_b32_e64 v42, 0xab367a10, 0, s2
	v_cndmask_b32_e64 v55, 0xbfd96872, v43, s2
	;; [unrolled: 1-line block ×3, first 2 shown]
	s_delay_alu instid0(VALU_DEP_2) | instskip(NEXT) | instid1(VALU_DEP_2)
	v_mul_f64_e32 v[58:59], v[54:55], v[16:17]
	v_mul_f64_e32 v[48:49], v[42:43], v[16:17]
	v_cmp_gt_f64_e64 s2, 0, v[54:55]
	v_mul_f64_e32 v[74:75], v[68:69], v[62:63]
	s_delay_alu instid0(VALU_DEP_4) | instskip(NEXT) | instid1(VALU_DEP_4)
	v_fma_f64 v[64:65], v[54:55], v[16:17], -v[58:59]
	v_fma_f64 v[46:47], v[42:43], v[16:17], -v[48:49]
	s_delay_alu instid0(VALU_DEP_3)
	v_fma_f64 v[16:17], -v[50:51], v[74:75], v[68:69]
	v_fma_f64 v[50:51], -v[52:53], v[76:77], v[70:71]
	;; [unrolled: 1-line block ×3, first 2 shown]
	v_fmac_f64_e32 v[64:65], v[54:55], v[18:19]
	v_fmac_f64_e32 v[46:47], v[42:43], v[18:19]
	v_div_fmas_f64 v[16:17], v[16:17], v[62:63], v[74:75]
	s_mov_b32 vcc_lo, s0
	v_cmp_class_f64_e64 s0, v[48:49], 0x204
	v_div_fmas_f64 v[18:19], v[50:51], v[60:61], v[76:77]
	s_mov_b32 vcc_lo, s1
	v_div_fmas_f64 v[50:51], v[52:53], v[56:57], v[78:79]
	v_cmp_class_f64_e64 vcc_lo, v[58:59], 0x204
	v_add_f64_e32 v[70:71], v[58:59], v[64:65]
	v_add_f64_e32 v[52:53], v[48:49], v[46:47]
	v_div_fixup_f64 v[16:17], v[16:17], 0xc0080000, v[44:45]
	v_div_fixup_f64 v[60:61], v[18:19], v[4:5], 0xc11ce898
	;; [unrolled: 1-line block ×3, first 2 shown]
	v_dual_cndmask_b32 v73, v71, v59 :: v_dual_cndmask_b32 v72, v70, v58
	v_dual_cndmask_b32 v51, v53, v49, s0 :: v_dual_cndmask_b32 v50, v52, v48, s0
	v_add_f64_e64 v[58:59], v[70:71], -v[58:59]
	v_mul_f64_e32 v[70:71], 0.5, v[54:55]
	s_delay_alu instid0(VALU_DEP_4)
	v_mul_f64_e32 v[18:19], 0x3ff71547652b82fe, v[72:73]
	v_cmp_nlt_f64_e32 vcc_lo, 0x40900000, v[72:73]
	v_mul_f64_e32 v[44:45], 0x3ff71547652b82fe, v[50:51]
	v_cmp_ngt_f64_e64 s0, 0xc090cc00, v[72:73]
	v_cmp_neq_f64_e64 s1, 0x7ff00000, |v[72:73]|
	v_add_f64_e64 v[48:49], v[52:53], -v[48:49]
	v_mul_f64_e32 v[52:53], 0x3b91b7e3c1c0e6ac, v[2:3]
	v_mul_f64_e32 v[56:57], 0x3ff71547652b82fe, v[16:17]
	;; [unrolled: 1-line block ×4, first 2 shown]
	v_add_f64_e64 v[58:59], v[64:65], -v[58:59]
	v_trunc_f64_e32 v[64:65], v[54:55]
	v_rndne_f64_e32 v[78:79], v[18:19]
	v_rndne_f64_e32 v[66:67], v[44:45]
	v_add_f64_e64 v[46:47], v[46:47], -v[48:49]
	v_mul_f64_e32 v[48:49], 0x3b82b358a38e75eb, v[2:3]
	v_mul_f64_e32 v[52:53], v[52:53], v[24:25]
	v_rndne_f64_e32 v[18:19], v[56:57]
	v_rndne_f64_e32 v[74:75], v[68:69]
	v_rndne_f64_e32 v[80:81], v[76:77]
	v_dual_cndmask_b32 v59, 0, v59, s1 :: v_dual_cndmask_b32 v58, 0, v58, s1
	v_fmamk_f64 v[82:83], v[78:79], 0xbfe62e42fefa39ef, v[72:73]
	v_cvt_i32_f64_e32 v4, v[78:79]
	v_fmamk_f64 v[68:69], v[66:67], 0xbfe62e42fefa39ef, v[50:51]
	v_trunc_f64_e32 v[72:73], v[70:71]
	v_mul_f64_e32 v[22:23], v[48:49], v[22:23]
	v_fmac_f64_e32 v[82:83], 0xbc7abc9e3b39803f, v[78:79]
	v_mul_f64_e32 v[52:53], v[20:21], v[52:53]
	v_fmac_f64_e32 v[68:69], 0xbc7abc9e3b39803f, v[66:67]
	v_cvt_i32_f64_e32 v66, v[66:67]
	v_fmamk_f64 v[44:45], v[18:19], 0xbfe62e42fefa39ef, v[16:17]
	v_fmamk_f64 v[76:77], v[74:75], 0xbfe62e42fefa39ef, v[60:61]
	;; [unrolled: 1-line block ×3, first 2 shown]
	s_delay_alu instid0(VALU_DEP_3) | instskip(NEXT) | instid1(VALU_DEP_3)
	v_fmac_f64_e32 v[44:45], 0xbc7abc9e3b39803f, v[18:19]
	v_fmac_f64_e32 v[76:77], 0xbc7abc9e3b39803f, v[74:75]
	s_delay_alu instid0(VALU_DEP_3)
	v_fmac_f64_e32 v[84:85], 0xbc7abc9e3b39803f, v[80:81]
	v_fmamk_f64 v[88:89], v[82:83], 0x3e5ade156a5dcb37, v[86:87]
	v_fmamk_f64 v[90:91], v[68:69], 0x3e5ade156a5dcb37, v[86:87]
	;; [unrolled: 1-line block ×4, first 2 shown]
	v_fmac_f64_e32 v[86:87], 0x3e5ade156a5dcb37, v[84:85]
	s_delay_alu instid0(VALU_DEP_3) | instskip(NEXT) | instid1(VALU_DEP_3)
	v_fmaak_f64 v[56:57], v[44:45], v[56:57], 0x3ec71dee623fde64
	v_fmaak_f64 v[78:79], v[76:77], v[92:93], 0x3ec71dee623fde64
	s_delay_alu instid0(VALU_DEP_2) | instskip(NEXT) | instid1(VALU_DEP_2)
	v_fmaak_f64 v[56:57], v[44:45], v[56:57], 0x3efa01997c89e6b0
	v_fmaak_f64 v[78:79], v[76:77], v[78:79], 0x3efa01997c89e6b0
	s_delay_alu instid0(VALU_DEP_2) | instskip(NEXT) | instid1(VALU_DEP_2)
	;; [unrolled: 3-line block ×3, first 2 shown]
	v_fmaak_f64 v[56:57], v[44:45], v[56:57], 0x3f56c16c1852b7b0
	v_fmaak_f64 v[78:79], v[76:77], v[78:79], 0x3f56c16c1852b7b0
	s_delay_alu instid0(VALU_DEP_2) | instskip(SKIP_2) | instid1(VALU_DEP_4)
	v_fmaak_f64 v[56:57], v[44:45], v[56:57], 0x3f81111111122322
	v_fmac_f64_e32 v[94:95], v[84:85], v[86:87]
	v_mov_b64_e32 v[86:87], 0x3efa01997c89e6b0
	v_fmaak_f64 v[78:79], v[76:77], v[78:79], 0x3f81111111122322
	s_delay_alu instid0(VALU_DEP_1) | instskip(NEXT) | instid1(VALU_DEP_1)
	v_fmaak_f64 v[78:79], v[76:77], v[78:79], 0x3fa55555555502a1
	v_fmaak_f64 v[78:79], v[76:77], v[78:79], 0x3fc5555555555511
	s_delay_alu instid0(VALU_DEP_1) | instskip(NEXT) | instid1(VALU_DEP_1)
	v_fmaak_f64 v[78:79], v[76:77], v[78:79], 0x3fe000000000000b
	v_fma_f64 v[78:79], v[76:77], v[78:79], 1.0
	v_fmac_f64_e32 v[86:87], v[84:85], v[94:95]
	v_mov_b64_e32 v[94:95], 0x3f2a01a014761f6e
	s_delay_alu instid0(VALU_DEP_1) | instskip(SKIP_1) | instid1(VALU_DEP_1)
	v_fmac_f64_e32 v[94:95], v[84:85], v[86:87]
	v_mov_b64_e32 v[86:87], 0x3f56c16c1852b7b0
	v_fmac_f64_e32 v[86:87], v[84:85], v[94:95]
	v_mov_b64_e32 v[94:95], 0x3f81111111122322
	s_delay_alu instid0(VALU_DEP_1) | instskip(SKIP_1) | instid1(VALU_DEP_1)
	v_fmac_f64_e32 v[94:95], v[84:85], v[86:87]
	v_mov_b64_e32 v[86:87], 0x3fa55555555502a1
	v_fmac_f64_e32 v[86:87], v[84:85], v[94:95]
	v_mov_b64_e32 v[94:95], 0x3fc5555555555511
	s_delay_alu instid0(VALU_DEP_1) | instskip(SKIP_2) | instid1(VALU_DEP_2)
	v_fmac_f64_e32 v[94:95], v[84:85], v[86:87]
	v_fmaak_f64 v[86:87], v[82:83], v[88:89], 0x3ec71dee623fde64
	v_cvt_i32_f64_e32 v88, v[80:81]
	v_fmaak_f64 v[86:87], v[82:83], v[86:87], 0x3efa01997c89e6b0
	s_delay_alu instid0(VALU_DEP_1) | instskip(NEXT) | instid1(VALU_DEP_1)
	v_fmaak_f64 v[86:87], v[82:83], v[86:87], 0x3f2a01a014761f6e
	v_fmaak_f64 v[86:87], v[82:83], v[86:87], 0x3f56c16c1852b7b0
	s_delay_alu instid0(VALU_DEP_1) | instskip(NEXT) | instid1(VALU_DEP_1)
	v_fmaak_f64 v[86:87], v[82:83], v[86:87], 0x3f81111111122322
	;; [unrolled: 3-line block ×3, first 2 shown]
	v_fmaak_f64 v[86:87], v[82:83], v[86:87], 0x3fe000000000000b
	s_delay_alu instid0(VALU_DEP_1) | instskip(NEXT) | instid1(VALU_DEP_1)
	v_fma_f64 v[86:87], v[82:83], v[86:87], 1.0
	v_fma_f64 v[82:83], v[82:83], v[86:87], 1.0
	v_mov_b64_e32 v[86:87], 0x3fe000000000000b
	s_delay_alu instid0(VALU_DEP_1) | instskip(NEXT) | instid1(VALU_DEP_3)
	v_fmac_f64_e32 v[86:87], v[84:85], v[94:95]
	v_ldexp_f64 v[82:83], v[82:83], v4
	s_delay_alu instid0(VALU_DEP_2) | instskip(NEXT) | instid1(VALU_DEP_2)
	v_fma_f64 v[86:87], v[84:85], v[86:87], 1.0
	v_cndmask_b32_e32 v4, 0x7ff00000, v83, vcc_lo
	s_and_b32 vcc_lo, s0, vcc_lo
	s_delay_alu instid0(VALU_DEP_3) | instskip(SKIP_1) | instid1(VALU_DEP_3)
	v_cndmask_b32_e32 v82, 0, v82, vcc_lo
	v_cmp_eq_f64_e32 vcc_lo, v[64:65], v[54:55]
	v_cndmask_b32_e64 v83, 0, v4, s0
	v_cmp_neq_f64_e64 s0, v[72:73], v[70:71]
	v_cvt_i32_f64_e32 v4, v[74:75]
	v_fma_f64 v[80:81], v[84:85], v[86:87], 1.0
	v_fma_f64 v[72:73], v[76:77], v[78:79], 1.0
	v_mov_b64_e32 v[64:65], v[82:83]
	v_cmp_class_f64_e64 s1, v[82:83], 0x204
	v_fmaak_f64 v[70:71], v[68:69], v[90:91], 0x3ec71dee623fde64
	s_delay_alu instid0(VALU_DEP_3) | instskip(NEXT) | instid1(VALU_DEP_2)
	v_fmac_f64_e32 v[64:65], v[64:65], v[58:59]
	v_fmaak_f64 v[70:71], v[68:69], v[70:71], 0x3efa01997c89e6b0
	s_delay_alu instid0(VALU_DEP_1) | instskip(NEXT) | instid1(VALU_DEP_1)
	v_fmaak_f64 v[54:55], v[68:69], v[70:71], 0x3f2a01a014761f6e
	v_fmaak_f64 v[54:55], v[68:69], v[54:55], 0x3f56c16c1852b7b0
	s_and_b32 s0, vcc_lo, s0
	v_ldexp_f64 v[58:59], v[80:81], v88
	v_cndmask_b32_e64 v74, 0x3ff00000, v5, s0
	v_ldexp_f64 v[70:71], v[72:73], v4
	v_cndmask_b32_e64 v72, 0, v5, s0
	v_fmaak_f64 v[54:55], v[68:69], v[54:55], 0x3f81111111122322
	v_cmp_ngt_f64_e64 s0, 0xc090cc00, v[60:61]
	v_dual_cndmask_b32 v4, v64, v82, s1 :: v_dual_cndmask_b32 v64, v65, v83, s1
	s_xor_b32 s1, s5, s2
	v_cmp_ngt_f64_e64 s2, 0xc090cc00, v[62:63]
	v_cndmask_b32_e64 v65, 0x7ff00000, 0, s1
	v_cmp_nlt_f64_e64 s1, 0x40900000, v[62:63]
	v_bfi_b32 v64, 0x7fffffff, v64, v74
	v_cndmask_b32_e32 v74, 0, v4, vcc_lo
	v_fmaak_f64 v[54:55], v[68:69], v[54:55], 0x3fa55555555502a1
	v_bfi_b32 v65, 0x7fffffff, v65, v72
	s_delay_alu instid0(VALU_DEP_4) | instskip(NEXT) | instid1(VALU_DEP_4)
	v_cndmask_b32_e32 v73, 0x7ff80000, v64, vcc_lo
	v_cndmask_b32_e64 v4, v4, v74, s6
	v_cmp_nlt_f64_e32 vcc_lo, 0x40900000, v[60:61]
	v_fmaak_f64 v[54:55], v[68:69], v[54:55], 0x3fc5555555555511
	s_delay_alu instid0(VALU_DEP_4) | instskip(NEXT) | instid1(VALU_DEP_1)
	v_cndmask_b32_e64 v64, v64, v73, s6
	v_cndmask_b32_e64 v65, v64, v65, s4
	;; [unrolled: 1-line block ×3, first 2 shown]
	v_mul_f64_e32 v[58:59], 0x3c2bab8cbabb6581, v[58:59]
	v_fmaak_f64 v[54:55], v[68:69], v[54:55], 0x3fe000000000000b
	s_delay_alu instid0(VALU_DEP_3) | instskip(NEXT) | instid1(VALU_DEP_2)
	v_mul_f64_e32 v[64:65], 0x3c8fef98d340d1f4, v[64:65]
	v_fma_f64 v[54:55], v[68:69], v[54:55], 1.0
	v_cndmask_b32_e32 v4, 0x7ff00000, v71, vcc_lo
	s_and_b32 vcc_lo, s0, vcc_lo
	v_cndmask_b32_e32 v62, 0, v70, vcc_lo
	s_and_b32 vcc_lo, s2, s1
	s_delay_alu instid0(VALU_DEP_2)
	v_cndmask_b32_e64 v63, 0, v4, s0
	v_cmp_ngt_f64_e64 s0, 0xc090cc00, v[50:51]
	v_cndmask_b32_e64 v59, 0x7ff00000, v59, s1
	v_cndmask_b32_e32 v58, 0, v58, vcc_lo
	v_cmp_nlt_f64_e32 vcc_lo, 0x40900000, v[50:51]
	v_cmp_neq_f64_e64 s1, 0x7ff00000, |v[50:51]|
	v_cndmask_b32_e64 v61, v65, 0x7ff80000, s7
	v_cndmask_b32_e64 v60, v64, 0, s7
	v_cndmask_b32_e64 v59, 0, v59, s2
	v_mul_f64_e32 v[64:65], 0x3b97fd57d9928ced, v[2:3]
	v_fma_f64 v[54:55], v[68:69], v[54:55], 1.0
	v_mul_f64_e32 v[50:51], 0.5, v[42:43]
	v_mul_f64_e32 v[60:61], v[62:63], v[60:61]
	v_mul_f64_e32 v[58:59], v[20:21], v[58:59]
	v_dual_cndmask_b32 v47, 0, v47, s1 :: v_dual_cndmask_b32 v46, 0, v46, s1
	v_mul_f64_e32 v[26:27], v[64:65], v[26:27]
	v_ldexp_f64 v[54:55], v[54:55], v66
	v_trunc_f64_e32 v[48:49], v[50:51]
	v_mul_f64_e32 v[60:61], v[20:21], v[60:61]
	v_mul_f64_e32 v[58:59], v[58:59], v[30:31]
	;; [unrolled: 1-line block ×3, first 2 shown]
	v_cndmask_b32_e32 v4, 0x7ff00000, v55, vcc_lo
	s_and_b32 vcc_lo, s0, vcc_lo
	s_delay_alu instid0(VALU_DEP_4) | instskip(NEXT) | instid1(VALU_DEP_4)
	v_mul_f64_e32 v[60:61], v[60:61], v[30:31]
	v_dual_mul_f64 v[24:25], v[58:59], v[36:37] :: v_dual_cndmask_b32 v54, 0, v54, vcc_lo
	s_delay_alu instid0(VALU_DEP_3)
	v_cndmask_b32_e64 v55, 0, v4, s0
	v_mul_f64_e32 v[58:59], 0x3a858a47b55aa151, v[2:3]
	v_mul_f64_e32 v[20:21], v[20:21], v[22:23]
	v_cmp_neq_f64_e64 s0, v[48:49], v[50:51]
	v_mul_f64_e32 v[22:23], v[52:53], v[30:31]
	v_mov_b64_e32 v[62:63], v[54:55]
	v_cmp_class_f64_e64 vcc_lo, v[54:55], 0x204
	s_delay_alu instid0(VALU_DEP_2) | instskip(SKIP_2) | instid1(VALU_DEP_2)
	v_fmac_f64_e32 v[62:63], v[62:63], v[46:47]
	v_fmaak_f64 v[46:47], v[44:45], v[56:57], 0x3fa55555555502a1
	v_trunc_f64_e32 v[56:57], v[42:43]
	v_fmaak_f64 v[46:47], v[44:45], v[46:47], 0x3fc5555555555511
	v_mul_f64_e32 v[26:27], v[26:27], v[30:31]
	s_delay_alu instid0(VALU_DEP_2) | instskip(SKIP_2) | instid1(VALU_DEP_3)
	v_fmaak_f64 v[46:47], v[44:45], v[46:47], 0x3fe000000000000b
	v_fmac_f64_e32 v[24:25], v[60:61], v[28:29]
	v_mul_f64_e32 v[58:59], v[58:59], v[12:13]
	v_fma_f64 v[46:47], v[44:45], v[46:47], 1.0
	v_mul_f64_e32 v[20:21], v[20:21], v[30:31]
	v_dual_cndmask_b32 v4, v63, v55, vcc_lo :: v_dual_cndmask_b32 v48, v62, v54, vcc_lo
	v_cmp_eq_f64_e32 vcc_lo, v[56:57], v[42:43]
	v_cvt_i32_f64_e32 v42, v[18:19]
	v_fmac_f64_e32 v[24:25], v[26:27], v[36:37]
	v_mul_f64_e32 v[26:27], 0x3aa58a47b55aa151, v[2:3]
	v_mul_f64_e32 v[36:37], v[58:59], v[14:15]
	v_fma_f64 v[18:19], v[44:45], v[46:47], 1.0
	s_and_b32 s0, vcc_lo, s0
	v_cndmask_b32_e32 v43, 0, v48, vcc_lo
	v_fmac_f64_e32 v[24:25], v[22:23], v[40:41]
	v_cndmask_b32_e64 v22, 0x3ff00000, v5, s0
	s_delay_alu instid0(VALU_DEP_3) | instskip(SKIP_2) | instid1(VALU_DEP_4)
	v_dual_cndmask_b32 v5, 0, v5, s0 :: v_dual_cndmask_b32 v40, v48, v43, s6
	v_mul_f64_e32 v[12:13], v[26:27], v[12:13]
	v_ldexp_f64 v[18:19], v[18:19], v42
	v_bfi_b32 v4, 0x7fffffff, v4, v22
	v_cndmask_b32_e64 v22, 0x7ff00000, 0, s5
	s_mov_b64 s[0:1], 0x3fd5c28f5c28f5c3
	s_delay_alu instid0(VALU_DEP_2) | instskip(NEXT) | instid1(VALU_DEP_2)
	v_cndmask_b32_e32 v23, 0x7ff80000, v4, vcc_lo
	v_bfi_b32 v5, 0x7fffffff, v22, v5
	v_cmp_nlt_f64_e32 vcc_lo, 0x40900000, v[16:17]
	s_delay_alu instid0(VALU_DEP_3) | instskip(SKIP_1) | instid1(VALU_DEP_2)
	v_cndmask_b32_e64 v22, v4, v23, s6
	v_cndmask_b32_e64 v4, v40, 0, s4
	v_dual_mul_f64 v[22:23], v[36:37], v[30:31] :: v_dual_cndmask_b32 v5, v22, v5, s4
	s_delay_alu instid0(VALU_DEP_1)
	v_mul_f64_e32 v[4:5], 0x3a933025653aaa2f, v[4:5]
	v_fmac_f64_e32 v[24:25], v[20:21], v[28:29]
	v_mul_f64_e32 v[10:11], v[12:13], v[14:15]
	v_fmaak_f64 v[18:19], s[0:1], v[18:19], 0x3ff199999999999a
	v_cmp_ngt_f64_e64 s0, 0xc090cc00, v[16:17]
	v_add_f64_e32 v[12:13], v[28:29], v[34:35]
	s_delay_alu instid0(VALU_DEP_3) | instskip(SKIP_2) | instid1(VALU_DEP_1)
	v_mul_f64_e32 v[18:19], 0x3a5c20416280eee3, v[18:19]
	v_cndmask_b32_e64 v5, v5, 0x7ff80000, s7
	v_cndmask_b32_e64 v4, v4, 0, s7
	v_mul_f64_e32 v[4:5], v[4:5], v[30:31]
	v_fmac_f64_e32 v[24:25], v[22:23], v[34:35]
	v_mul_f64_e32 v[8:9], v[10:11], v[30:31]
	v_fmac_f64_e32 v[12:13], 4.0, v[32:33]
	v_cndmask_b32_e32 v14, 0x7ff00000, v19, vcc_lo
	s_delay_alu instid0(VALU_DEP_4) | instskip(SKIP_1) | instid1(VALU_DEP_3)
	v_fmac_f64_e32 v[24:25], v[4:5], v[28:29]
	v_cndmask_b32_e32 v4, 0, v18, vcc_lo
	v_cndmask_b32_e64 v5, 0x3a5ef047, v14, s0
	s_delay_alu instid0(VALU_DEP_2) | instskip(NEXT) | instid1(VALU_DEP_1)
	v_cndmask_b32_e64 v4, 0xec5aa061, v4, s0
	v_mul_f64_e32 v[2:3], v[2:3], v[4:5]
	v_fmac_f64_e32 v[24:25], v[8:9], v[32:33]
	s_delay_alu instid0(VALU_DEP_2) | instskip(NEXT) | instid1(VALU_DEP_2)
	v_mul_f64_e32 v[2:3], v[2:3], v[12:13]
	v_fmac_f64_e32 v[24:25], v[6:7], v[28:29]
	s_delay_alu instid0(VALU_DEP_1) | instskip(NEXT) | instid1(VALU_DEP_1)
	v_fmac_f64_e32 v[24:25], v[30:31], v[2:3]
	v_add_f64_e64 v[2:3], v[24:25], -v[38:39]
	global_store_b64 v[0:1], v[2:3], off
.LBB0_11:
	s_sendmsg sendmsg(MSG_DEALLOC_VGPRS)
	s_endpgm
	.section	.rodata,"a",@progbits
	.p2align	6, 0x0
	.amdhsa_kernel _Z11cool_kernelidPKdPdi
		.amdhsa_group_segment_fixed_size 0
		.amdhsa_private_segment_fixed_size 0
		.amdhsa_kernarg_size 296
		.amdhsa_user_sgpr_count 2
		.amdhsa_user_sgpr_dispatch_ptr 0
		.amdhsa_user_sgpr_queue_ptr 0
		.amdhsa_user_sgpr_kernarg_segment_ptr 1
		.amdhsa_user_sgpr_dispatch_id 0
		.amdhsa_user_sgpr_kernarg_preload_length 0
		.amdhsa_user_sgpr_kernarg_preload_offset 0
		.amdhsa_user_sgpr_private_segment_size 0
		.amdhsa_wavefront_size32 1
		.amdhsa_uses_dynamic_stack 0
		.amdhsa_enable_private_segment 0
		.amdhsa_system_sgpr_workgroup_id_x 1
		.amdhsa_system_sgpr_workgroup_id_y 0
		.amdhsa_system_sgpr_workgroup_id_z 0
		.amdhsa_system_sgpr_workgroup_info 0
		.amdhsa_system_vgpr_workitem_id 0
		.amdhsa_next_free_vgpr 96
		.amdhsa_next_free_sgpr 24
		.amdhsa_named_barrier_count 0
		.amdhsa_reserve_vcc 1
		.amdhsa_float_round_mode_32 0
		.amdhsa_float_round_mode_16_64 0
		.amdhsa_float_denorm_mode_32 3
		.amdhsa_float_denorm_mode_16_64 3
		.amdhsa_fp16_overflow 0
		.amdhsa_memory_ordered 1
		.amdhsa_forward_progress 1
		.amdhsa_inst_pref_size 103
		.amdhsa_round_robin_scheduling 0
		.amdhsa_exception_fp_ieee_invalid_op 0
		.amdhsa_exception_fp_denorm_src 0
		.amdhsa_exception_fp_ieee_div_zero 0
		.amdhsa_exception_fp_ieee_overflow 0
		.amdhsa_exception_fp_ieee_underflow 0
		.amdhsa_exception_fp_ieee_inexact 0
		.amdhsa_exception_int_div_zero 0
	.end_amdhsa_kernel
	.text
.Lfunc_end0:
	.size	_Z11cool_kernelidPKdPdi, .Lfunc_end0-_Z11cool_kernelidPKdPdi
                                        ; -- End function
	.set _Z11cool_kernelidPKdPdi.num_vgpr, 96
	.set _Z11cool_kernelidPKdPdi.num_agpr, 0
	.set _Z11cool_kernelidPKdPdi.numbered_sgpr, 24
	.set _Z11cool_kernelidPKdPdi.num_named_barrier, 0
	.set _Z11cool_kernelidPKdPdi.private_seg_size, 0
	.set _Z11cool_kernelidPKdPdi.uses_vcc, 1
	.set _Z11cool_kernelidPKdPdi.uses_flat_scratch, 0
	.set _Z11cool_kernelidPKdPdi.has_dyn_sized_stack, 0
	.set _Z11cool_kernelidPKdPdi.has_recursion, 0
	.set _Z11cool_kernelidPKdPdi.has_indirect_call, 0
	.section	.AMDGPU.csdata,"",@progbits
; Kernel info:
; codeLenInByte = 13172
; TotalNumSgprs: 26
; NumVgprs: 96
; ScratchSize: 0
; MemoryBound: 0
; FloatMode: 240
; IeeeMode: 1
; LDSByteSize: 0 bytes/workgroup (compile time only)
; SGPRBlocks: 0
; VGPRBlocks: 5
; NumSGPRsForWavesPerEU: 26
; NumVGPRsForWavesPerEU: 96
; NamedBarCnt: 0
; Occupancy: 10
; WaveLimiterHint : 0
; COMPUTE_PGM_RSRC2:SCRATCH_EN: 0
; COMPUTE_PGM_RSRC2:USER_SGPR: 2
; COMPUTE_PGM_RSRC2:TRAP_HANDLER: 0
; COMPUTE_PGM_RSRC2:TGID_X_EN: 1
; COMPUTE_PGM_RSRC2:TGID_Y_EN: 0
; COMPUTE_PGM_RSRC2:TGID_Z_EN: 0
; COMPUTE_PGM_RSRC2:TIDIG_COMP_CNT: 0
	.text
	.p2alignl 7, 3214868480
	.fill 96, 4, 3214868480
	.section	.AMDGPU.gpr_maximums,"",@progbits
	.set amdgpu.max_num_vgpr, 0
	.set amdgpu.max_num_agpr, 0
	.set amdgpu.max_num_sgpr, 0
	.text
	.type	__hip_cuid_9e414c60e9c111f2,@object ; @__hip_cuid_9e414c60e9c111f2
	.section	.bss,"aw",@nobits
	.globl	__hip_cuid_9e414c60e9c111f2
__hip_cuid_9e414c60e9c111f2:
	.byte	0                               ; 0x0
	.size	__hip_cuid_9e414c60e9c111f2, 1

	.ident	"AMD clang version 22.0.0git (https://github.com/RadeonOpenCompute/llvm-project roc-7.2.4 26084 f58b06dce1f9c15707c5f808fd002e18c2accf7e)"
	.section	".note.GNU-stack","",@progbits
	.addrsig
	.addrsig_sym __hip_cuid_9e414c60e9c111f2
	.amdgpu_metadata
---
amdhsa.kernels:
  - .args:
      - .offset:         0
        .size:           4
        .value_kind:     by_value
      - .offset:         8
        .size:           8
        .value_kind:     by_value
      - .actual_access:  read_only
        .address_space:  global
        .offset:         16
        .size:           8
        .value_kind:     global_buffer
      - .actual_access:  write_only
        .address_space:  global
        .offset:         24
        .size:           8
        .value_kind:     global_buffer
      - .offset:         32
        .size:           4
        .value_kind:     by_value
      - .offset:         40
        .size:           4
        .value_kind:     hidden_block_count_x
      - .offset:         44
        .size:           4
        .value_kind:     hidden_block_count_y
      - .offset:         48
        .size:           4
        .value_kind:     hidden_block_count_z
      - .offset:         52
        .size:           2
        .value_kind:     hidden_group_size_x
      - .offset:         54
        .size:           2
        .value_kind:     hidden_group_size_y
      - .offset:         56
        .size:           2
        .value_kind:     hidden_group_size_z
      - .offset:         58
        .size:           2
        .value_kind:     hidden_remainder_x
      - .offset:         60
        .size:           2
        .value_kind:     hidden_remainder_y
      - .offset:         62
        .size:           2
        .value_kind:     hidden_remainder_z
      - .offset:         80
        .size:           8
        .value_kind:     hidden_global_offset_x
      - .offset:         88
        .size:           8
        .value_kind:     hidden_global_offset_y
      - .offset:         96
        .size:           8
        .value_kind:     hidden_global_offset_z
      - .offset:         104
        .size:           2
        .value_kind:     hidden_grid_dims
    .group_segment_fixed_size: 0
    .kernarg_segment_align: 8
    .kernarg_segment_size: 296
    .language:       OpenCL C
    .language_version:
      - 2
      - 0
    .max_flat_workgroup_size: 1024
    .name:           _Z11cool_kernelidPKdPdi
    .private_segment_fixed_size: 0
    .sgpr_count:     26
    .sgpr_spill_count: 0
    .symbol:         _Z11cool_kernelidPKdPdi.kd
    .uniform_work_group_size: 1
    .uses_dynamic_stack: false
    .vgpr_count:     96
    .vgpr_spill_count: 0
    .wavefront_size: 32
amdhsa.target:   amdgcn-amd-amdhsa--gfx1250
amdhsa.version:
  - 1
  - 2
...

	.end_amdgpu_metadata
